;; amdgpu-corpus repo=ROCm/rocFFT kind=compiled arch=gfx1030 opt=O3
	.text
	.amdgcn_target "amdgcn-amd-amdhsa--gfx1030"
	.amdhsa_code_object_version 6
	.protected	fft_rtc_back_len1666_factors_17_2_7_7_wgs_119_tpt_119_halfLds_sp_op_CI_CI_sbrr_dirReg ; -- Begin function fft_rtc_back_len1666_factors_17_2_7_7_wgs_119_tpt_119_halfLds_sp_op_CI_CI_sbrr_dirReg
	.globl	fft_rtc_back_len1666_factors_17_2_7_7_wgs_119_tpt_119_halfLds_sp_op_CI_CI_sbrr_dirReg
	.p2align	8
	.type	fft_rtc_back_len1666_factors_17_2_7_7_wgs_119_tpt_119_halfLds_sp_op_CI_CI_sbrr_dirReg,@function
fft_rtc_back_len1666_factors_17_2_7_7_wgs_119_tpt_119_halfLds_sp_op_CI_CI_sbrr_dirReg: ; @fft_rtc_back_len1666_factors_17_2_7_7_wgs_119_tpt_119_halfLds_sp_op_CI_CI_sbrr_dirReg
; %bb.0:
	s_clause 0x2
	s_load_dwordx4 s[16:19], s[4:5], 0x18
	s_load_dwordx4 s[12:15], s[4:5], 0x0
	;; [unrolled: 1-line block ×3, first 2 shown]
	v_mul_u32_u24_e32 v2, 0x227, v0
	v_mov_b32_e32 v1, 0
	v_mov_b32_e32 v32, 0
	;; [unrolled: 1-line block ×3, first 2 shown]
	s_waitcnt lgkmcnt(0)
	s_load_dwordx2 s[20:21], s[16:17], 0x0
	s_load_dwordx2 s[2:3], s[18:19], 0x0
	v_cmp_lt_u64_e64 s0, s[14:15], 2
	v_add_nc_u32_sdwa v3, s6, v2 dst_sel:DWORD dst_unused:UNUSED_PAD src0_sel:DWORD src1_sel:WORD_1
	v_mov_b32_e32 v4, v1
	s_and_b32 vcc_lo, exec_lo, s0
	s_cbranch_vccnz .LBB0_8
; %bb.1:
	s_load_dwordx2 s[0:1], s[4:5], 0x10
	v_mov_b32_e32 v32, 0
	v_mov_b32_e32 v33, 0
	s_add_u32 s6, s18, 8
	s_addc_u32 s7, s19, 0
	v_mov_b32_e32 v12, v32
	s_add_u32 s22, s16, 8
	v_mov_b32_e32 v13, v33
	s_addc_u32 s23, s17, 0
	s_mov_b64 s[26:27], 1
	s_waitcnt lgkmcnt(0)
	s_add_u32 s24, s0, 8
	s_addc_u32 s25, s1, 0
.LBB0_2:                                ; =>This Inner Loop Header: Depth=1
	s_load_dwordx2 s[28:29], s[24:25], 0x0
                                        ; implicit-def: $vgpr14_vgpr15
	s_mov_b32 s0, exec_lo
	s_waitcnt lgkmcnt(0)
	v_or_b32_e32 v2, s29, v4
	v_cmpx_ne_u64_e32 0, v[1:2]
	s_xor_b32 s1, exec_lo, s0
	s_cbranch_execz .LBB0_4
; %bb.3:                                ;   in Loop: Header=BB0_2 Depth=1
	v_cvt_f32_u32_e32 v2, s28
	v_cvt_f32_u32_e32 v5, s29
	s_sub_u32 s0, 0, s28
	s_subb_u32 s30, 0, s29
	v_fmac_f32_e32 v2, 0x4f800000, v5
	v_rcp_f32_e32 v2, v2
	v_mul_f32_e32 v2, 0x5f7ffffc, v2
	v_mul_f32_e32 v5, 0x2f800000, v2
	v_trunc_f32_e32 v5, v5
	v_fmac_f32_e32 v2, 0xcf800000, v5
	v_cvt_u32_f32_e32 v5, v5
	v_cvt_u32_f32_e32 v2, v2
	v_mul_lo_u32 v6, s0, v5
	v_mul_hi_u32 v7, s0, v2
	v_mul_lo_u32 v8, s30, v2
	v_add_nc_u32_e32 v6, v7, v6
	v_mul_lo_u32 v7, s0, v2
	v_add_nc_u32_e32 v6, v6, v8
	v_mul_hi_u32 v8, v2, v7
	v_mul_lo_u32 v9, v2, v6
	v_mul_hi_u32 v10, v2, v6
	v_mul_hi_u32 v11, v5, v7
	v_mul_lo_u32 v7, v5, v7
	v_mul_hi_u32 v14, v5, v6
	v_mul_lo_u32 v6, v5, v6
	v_add_co_u32 v8, vcc_lo, v8, v9
	v_add_co_ci_u32_e32 v9, vcc_lo, 0, v10, vcc_lo
	v_add_co_u32 v7, vcc_lo, v8, v7
	v_add_co_ci_u32_e32 v7, vcc_lo, v9, v11, vcc_lo
	v_add_co_ci_u32_e32 v8, vcc_lo, 0, v14, vcc_lo
	v_add_co_u32 v6, vcc_lo, v7, v6
	v_add_co_ci_u32_e32 v7, vcc_lo, 0, v8, vcc_lo
	v_add_co_u32 v2, vcc_lo, v2, v6
	v_add_co_ci_u32_e32 v5, vcc_lo, v5, v7, vcc_lo
	v_mul_hi_u32 v6, s0, v2
	v_mul_lo_u32 v8, s30, v2
	v_mul_lo_u32 v7, s0, v5
	v_add_nc_u32_e32 v6, v6, v7
	v_mul_lo_u32 v7, s0, v2
	v_add_nc_u32_e32 v6, v6, v8
	v_mul_hi_u32 v8, v2, v7
	v_mul_lo_u32 v9, v2, v6
	v_mul_hi_u32 v10, v2, v6
	v_mul_hi_u32 v11, v5, v7
	v_mul_lo_u32 v7, v5, v7
	v_mul_hi_u32 v14, v5, v6
	v_mul_lo_u32 v6, v5, v6
	v_add_co_u32 v8, vcc_lo, v8, v9
	v_add_co_ci_u32_e32 v9, vcc_lo, 0, v10, vcc_lo
	v_add_co_u32 v7, vcc_lo, v8, v7
	v_add_co_ci_u32_e32 v7, vcc_lo, v9, v11, vcc_lo
	v_add_co_ci_u32_e32 v8, vcc_lo, 0, v14, vcc_lo
	v_add_co_u32 v6, vcc_lo, v7, v6
	v_add_co_ci_u32_e32 v7, vcc_lo, 0, v8, vcc_lo
	v_add_co_u32 v2, vcc_lo, v2, v6
	v_add_co_ci_u32_e32 v9, vcc_lo, v5, v7, vcc_lo
	v_mul_hi_u32 v11, v3, v2
	v_mad_u64_u32 v[7:8], null, v4, v2, 0
	v_mad_u64_u32 v[5:6], null, v3, v9, 0
	v_mad_u64_u32 v[9:10], null, v4, v9, 0
	v_add_co_u32 v2, vcc_lo, v11, v5
	v_add_co_ci_u32_e32 v5, vcc_lo, 0, v6, vcc_lo
	v_add_co_u32 v2, vcc_lo, v2, v7
	v_add_co_ci_u32_e32 v2, vcc_lo, v5, v8, vcc_lo
	v_add_co_ci_u32_e32 v5, vcc_lo, 0, v10, vcc_lo
	v_add_co_u32 v2, vcc_lo, v2, v9
	v_add_co_ci_u32_e32 v7, vcc_lo, 0, v5, vcc_lo
	v_mul_lo_u32 v8, s29, v2
	v_mad_u64_u32 v[5:6], null, s28, v2, 0
	v_mul_lo_u32 v9, s28, v7
	v_sub_co_u32 v5, vcc_lo, v3, v5
	v_add3_u32 v6, v6, v9, v8
	v_sub_nc_u32_e32 v8, v4, v6
	v_subrev_co_ci_u32_e64 v8, s0, s29, v8, vcc_lo
	v_add_co_u32 v9, s0, v2, 2
	v_add_co_ci_u32_e64 v10, s0, 0, v7, s0
	v_sub_co_u32 v11, s0, v5, s28
	v_sub_co_ci_u32_e32 v6, vcc_lo, v4, v6, vcc_lo
	v_subrev_co_ci_u32_e64 v8, s0, 0, v8, s0
	v_cmp_le_u32_e32 vcc_lo, s28, v11
	v_cmp_eq_u32_e64 s0, s29, v6
	v_cndmask_b32_e64 v11, 0, -1, vcc_lo
	v_cmp_le_u32_e32 vcc_lo, s29, v8
	v_cndmask_b32_e64 v14, 0, -1, vcc_lo
	v_cmp_le_u32_e32 vcc_lo, s28, v5
	;; [unrolled: 2-line block ×3, first 2 shown]
	v_cndmask_b32_e64 v15, 0, -1, vcc_lo
	v_cmp_eq_u32_e32 vcc_lo, s29, v8
	v_cndmask_b32_e64 v5, v15, v5, s0
	v_cndmask_b32_e32 v8, v14, v11, vcc_lo
	v_add_co_u32 v11, vcc_lo, v2, 1
	v_add_co_ci_u32_e32 v14, vcc_lo, 0, v7, vcc_lo
	v_cmp_ne_u32_e32 vcc_lo, 0, v8
	v_cndmask_b32_e32 v6, v14, v10, vcc_lo
	v_cndmask_b32_e32 v8, v11, v9, vcc_lo
	v_cmp_ne_u32_e32 vcc_lo, 0, v5
	v_cndmask_b32_e32 v15, v7, v6, vcc_lo
	v_cndmask_b32_e32 v14, v2, v8, vcc_lo
.LBB0_4:                                ;   in Loop: Header=BB0_2 Depth=1
	s_andn2_saveexec_b32 s0, s1
	s_cbranch_execz .LBB0_6
; %bb.5:                                ;   in Loop: Header=BB0_2 Depth=1
	v_cvt_f32_u32_e32 v2, s28
	s_sub_i32 s1, 0, s28
	v_mov_b32_e32 v15, v1
	v_rcp_iflag_f32_e32 v2, v2
	v_mul_f32_e32 v2, 0x4f7ffffe, v2
	v_cvt_u32_f32_e32 v2, v2
	v_mul_lo_u32 v5, s1, v2
	v_mul_hi_u32 v5, v2, v5
	v_add_nc_u32_e32 v2, v2, v5
	v_mul_hi_u32 v2, v3, v2
	v_mul_lo_u32 v5, v2, s28
	v_add_nc_u32_e32 v6, 1, v2
	v_sub_nc_u32_e32 v5, v3, v5
	v_subrev_nc_u32_e32 v7, s28, v5
	v_cmp_le_u32_e32 vcc_lo, s28, v5
	v_cndmask_b32_e32 v5, v5, v7, vcc_lo
	v_cndmask_b32_e32 v2, v2, v6, vcc_lo
	v_cmp_le_u32_e32 vcc_lo, s28, v5
	v_add_nc_u32_e32 v6, 1, v2
	v_cndmask_b32_e32 v14, v2, v6, vcc_lo
.LBB0_6:                                ;   in Loop: Header=BB0_2 Depth=1
	s_or_b32 exec_lo, exec_lo, s0
	v_mul_lo_u32 v2, v15, s28
	v_mul_lo_u32 v7, v14, s29
	s_load_dwordx2 s[0:1], s[22:23], 0x0
	v_mad_u64_u32 v[5:6], null, v14, s28, 0
	s_load_dwordx2 s[28:29], s[6:7], 0x0
	s_add_u32 s26, s26, 1
	s_addc_u32 s27, s27, 0
	s_add_u32 s6, s6, 8
	s_addc_u32 s7, s7, 0
	s_add_u32 s22, s22, 8
	v_add3_u32 v2, v6, v7, v2
	v_sub_co_u32 v3, vcc_lo, v3, v5
	s_addc_u32 s23, s23, 0
	s_add_u32 s24, s24, 8
	v_sub_co_ci_u32_e32 v2, vcc_lo, v4, v2, vcc_lo
	s_addc_u32 s25, s25, 0
	s_waitcnt lgkmcnt(0)
	v_mul_lo_u32 v4, s0, v2
	v_mul_lo_u32 v5, s1, v3
	v_mad_u64_u32 v[32:33], null, s0, v3, v[32:33]
	v_mul_lo_u32 v2, s28, v2
	v_mul_lo_u32 v6, s29, v3
	v_mad_u64_u32 v[12:13], null, s28, v3, v[12:13]
	v_cmp_ge_u64_e64 s0, s[26:27], s[14:15]
	v_add3_u32 v33, v5, v33, v4
	v_add3_u32 v13, v6, v13, v2
	s_and_b32 vcc_lo, exec_lo, s0
	s_cbranch_vccnz .LBB0_9
; %bb.7:                                ;   in Loop: Header=BB0_2 Depth=1
	v_mov_b32_e32 v3, v14
	v_mov_b32_e32 v4, v15
	s_branch .LBB0_2
.LBB0_8:
	v_mov_b32_e32 v12, v32
	v_mov_b32_e32 v15, v4
	;; [unrolled: 1-line block ×4, first 2 shown]
.LBB0_9:
	s_load_dwordx2 s[0:1], s[4:5], 0x28
	v_mul_hi_u32 v1, 0x226b903, v0
	s_lshl_b64 s[6:7], s[14:15], 3
	v_mov_b32_e32 v23, 0
	v_mov_b32_e32 v22, 0
	s_add_u32 s4, s18, s6
	s_addc_u32 s5, s19, s7
                                        ; implicit-def: $vgpr31
                                        ; implicit-def: $vgpr27
                                        ; implicit-def: $vgpr19
                                        ; implicit-def: $vgpr21
                                        ; implicit-def: $vgpr11
                                        ; implicit-def: $vgpr7
                                        ; implicit-def: $vgpr3
                                        ; implicit-def: $vgpr5
                                        ; implicit-def: $vgpr9
                                        ; implicit-def: $vgpr17
                                        ; implicit-def: $vgpr25
                                        ; implicit-def: $vgpr49
                                        ; implicit-def: $vgpr51
                                        ; implicit-def: $vgpr41
                                        ; implicit-def: $vgpr29
	v_mul_u32_u24_e32 v1, 0x77, v1
	v_sub_nc_u32_e32 v52, v0, v1
                                        ; implicit-def: $vgpr1
	s_waitcnt lgkmcnt(0)
	v_cmp_gt_u64_e32 vcc_lo, s[0:1], v[14:15]
	v_cmp_gt_u32_e64 s0, 0x62, v52
	s_and_b32 s1, vcc_lo, s0
	s_and_saveexec_b32 s14, s1
	s_cbranch_execz .LBB0_11
; %bb.10:
	s_add_u32 s6, s16, s6
	s_addc_u32 s7, s17, s7
	v_add_nc_u32_e32 v19, 0xc4, v52
	s_load_dwordx2 s[6:7], s[6:7], 0x0
	v_add_nc_u32_e32 v20, 0x126, v52
	v_add_nc_u32_e32 v18, 0x62, v52
	v_mad_u64_u32 v[0:1], null, s20, v52, 0
	v_mad_u64_u32 v[6:7], null, s20, v19, 0
	v_lshlrev_b64 v[2:3], 3, v[32:33]
	v_mad_u64_u32 v[8:9], null, s20, v20, 0
	v_mad_u64_u32 v[4:5], null, s20, v18, 0
	v_add_nc_u32_e32 v21, 0x188, v52
	v_mad_u64_u32 v[16:17], null, s21, v52, v[1:2]
	v_mov_b32_e32 v1, v7
	v_mov_b32_e32 v7, v9
	v_add_nc_u32_e32 v24, 0x24c, v52
	v_mad_u64_u32 v[17:18], null, s21, v18, v[5:6]
	s_waitcnt lgkmcnt(0)
	v_mul_lo_u32 v22, s7, v14
	v_mul_lo_u32 v23, s6, v15
	v_mad_u64_u32 v[10:11], null, s6, v14, 0
	v_mad_u64_u32 v[18:19], null, s21, v19, v[1:2]
	;; [unrolled: 1-line block ×3, first 2 shown]
	v_mov_b32_e32 v1, v16
	v_mov_b32_e32 v5, v17
	v_add3_u32 v11, v11, v23, v22
	v_add_nc_u32_e32 v22, 0x1ea, v52
	v_mov_b32_e32 v7, v18
	v_lshlrev_b64 v[0:1], 3, v[0:1]
	v_lshlrev_b64 v[4:5], 3, v[4:5]
	;; [unrolled: 1-line block ×3, first 2 shown]
	v_add_nc_u32_e32 v25, 0x2ae, v52
	v_add_nc_u32_e32 v34, 0x3d4, v52
	v_add_nc_u32_e32 v38, 0x4fa, v52
	v_add_nc_u32_e32 v41, 0x55c, v52
	v_add_nc_u32_e32 v46, 0x5be, v52
	v_add_co_u32 v9, s1, s8, v9
	v_add_co_ci_u32_e64 v10, s1, s9, v10, s1
	v_add_nc_u32_e32 v47, 0x620, v52
	v_add_co_u32 v44, s1, v9, v2
	v_mov_b32_e32 v9, v19
	v_add_co_ci_u32_e64 v45, s1, v10, v3, s1
	v_lshlrev_b64 v[2:3], 3, v[6:7]
	v_mad_u64_u32 v[6:7], null, s20, v21, 0
	v_mad_u64_u32 v[10:11], null, s20, v22, 0
	v_lshlrev_b64 v[8:9], 3, v[8:9]
	v_add_co_u32 v0, s1, v44, v0
	v_add_co_ci_u32_e64 v1, s1, v45, v1, s1
	v_add_co_u32 v4, s1, v44, v4
	v_mad_u64_u32 v[16:17], null, s21, v21, v[7:8]
	v_mad_u64_u32 v[17:18], null, s21, v22, v[11:12]
	v_add_co_ci_u32_e64 v5, s1, v45, v5, s1
	v_add_co_u32 v2, s1, v44, v2
	v_mov_b32_e32 v7, v16
	v_add_co_ci_u32_e64 v3, s1, v45, v3, s1
	v_mov_b32_e32 v11, v17
	v_mad_u64_u32 v[16:17], null, s20, v24, 0
	v_add_co_u32 v8, s1, v44, v8
	v_add_co_ci_u32_e64 v9, s1, v45, v9, s1
	s_clause 0x3
	global_load_dwordx2 v[22:23], v[0:1], off
	global_load_dwordx2 v[30:31], v[4:5], off
	;; [unrolled: 1-line block ×4, first 2 shown]
	v_lshlrev_b64 v[3:4], 3, v[10:11]
	v_mad_u64_u32 v[20:21], null, s20, v25, 0
	v_mov_b32_e32 v2, v17
	v_lshlrev_b64 v[0:1], 3, v[6:7]
	v_add_nc_u32_e32 v11, 0x310, v52
	v_mad_u64_u32 v[6:7], null, s21, v24, v[2:3]
	v_mov_b32_e32 v5, v21
	v_add_co_u32 v0, s1, v44, v0
	v_add_co_ci_u32_e64 v1, s1, v45, v1, s1
	v_add_co_u32 v2, s1, v44, v3
	v_mad_u64_u32 v[7:8], null, s21, v25, v[5:6]
	v_mad_u64_u32 v[8:9], null, s20, v11, 0
	v_mov_b32_e32 v17, v6
	v_add_co_ci_u32_e64 v3, s1, v45, v4, s1
	v_mov_b32_e32 v21, v7
	v_add_nc_u32_e32 v7, 0x372, v52
	v_lshlrev_b64 v[5:6], 3, v[16:17]
	v_mov_b32_e32 v4, v9
	v_lshlrev_b64 v[9:10], 3, v[20:21]
	v_mad_u64_u32 v[24:25], null, s20, v7, 0
	v_mad_u64_u32 v[16:17], null, s21, v11, v[4:5]
	v_add_co_u32 v4, s1, v44, v5
	v_add_co_ci_u32_e64 v5, s1, v45, v6, s1
	v_mov_b32_e32 v6, v25
	v_add_co_u32 v28, s1, v44, v9
	v_add_co_ci_u32_e64 v29, s1, v45, v10, s1
	v_mad_u64_u32 v[32:33], null, s21, v7, v[6:7]
	s_clause 0x3
	global_load_dwordx2 v[20:21], v[0:1], off
	global_load_dwordx2 v[10:11], v[2:3], off
	;; [unrolled: 1-line block ×4, first 2 shown]
	v_mov_b32_e32 v9, v16
	v_mad_u64_u32 v[16:17], null, s20, v34, 0
	v_add_nc_u32_e32 v33, 0x436, v52
	v_lshlrev_b64 v[2:3], 3, v[8:9]
	v_mov_b32_e32 v25, v32
	v_mad_u64_u32 v[8:9], null, s20, v33, 0
	v_mov_b32_e32 v4, v17
	v_lshlrev_b64 v[24:25], 3, v[24:25]
	v_add_co_u32 v2, s1, v44, v2
	v_add_co_ci_u32_e64 v3, s1, v45, v3, s1
	v_mad_u64_u32 v[4:5], null, s21, v34, v[4:5]
	v_mov_b32_e32 v5, v9
	v_add_nc_u32_e32 v34, 0x498, v52
	v_add_co_u32 v24, s1, v44, v24
	v_add_co_ci_u32_e64 v25, s1, v45, v25, s1
	v_mov_b32_e32 v17, v4
	v_mad_u64_u32 v[28:29], null, s20, v34, 0
	v_lshlrev_b64 v[16:17], 3, v[16:17]
	v_add_co_u32 v16, s1, v44, v16
	v_add_co_ci_u32_e64 v17, s1, v45, v17, s1
	s_waitcnt vmcnt(1)
	v_mad_u64_u32 v[4:5], null, s21, v33, v[5:6]
	v_mad_u64_u32 v[32:33], null, s20, v38, 0
	v_mov_b32_e32 v9, v4
	v_mov_b32_e32 v4, v29
	v_lshlrev_b64 v[8:9], 3, v[8:9]
	v_mad_u64_u32 v[4:5], null, s21, v34, v[4:5]
	v_mad_u64_u32 v[34:35], null, s20, v41, 0
	v_mov_b32_e32 v5, v33
	v_add_co_u32 v36, s1, v44, v8
	v_add_co_ci_u32_e64 v37, s1, v45, v9, s1
	v_mad_u64_u32 v[38:39], null, s21, v38, v[5:6]
	v_mov_b32_e32 v29, v4
	v_mov_b32_e32 v4, v35
	v_mad_u64_u32 v[39:40], null, s20, v46, 0
	v_lshlrev_b64 v[28:29], 3, v[28:29]
	v_mad_u64_u32 v[41:42], null, s21, v41, v[4:5]
	v_mad_u64_u32 v[42:43], null, s20, v47, 0
	s_clause 0x3
	global_load_dwordx2 v[2:3], v[2:3], off
	global_load_dwordx2 v[4:5], v[24:25], off
	;; [unrolled: 1-line block ×4, first 2 shown]
	v_mov_b32_e32 v24, v40
	v_mov_b32_e32 v33, v38
	v_add_co_u32 v28, s1, v44, v28
	v_mov_b32_e32 v35, v41
	v_mad_u64_u32 v[24:25], null, s21, v46, v[24:25]
	v_mov_b32_e32 v25, v43
	v_lshlrev_b64 v[32:33], 3, v[32:33]
	v_lshlrev_b64 v[34:35], 3, v[34:35]
	v_add_co_ci_u32_e64 v29, s1, v45, v29, s1
	v_mad_u64_u32 v[36:37], null, s21, v47, v[25:26]
	v_mov_b32_e32 v40, v24
	v_add_co_u32 v32, s1, v44, v32
	v_add_co_ci_u32_e64 v33, s1, v45, v33, s1
	v_lshlrev_b64 v[24:25], 3, v[39:40]
	v_mov_b32_e32 v43, v36
	v_add_co_u32 v34, s1, v44, v34
	v_add_co_ci_u32_e64 v35, s1, v45, v35, s1
	v_lshlrev_b64 v[36:37], 3, v[42:43]
	v_add_co_u32 v38, s1, v44, v24
	v_add_co_ci_u32_e64 v39, s1, v45, v25, s1
	v_add_co_u32 v36, s1, v44, v36
	v_add_co_ci_u32_e64 v37, s1, v45, v37, s1
	s_clause 0x4
	global_load_dwordx2 v[24:25], v[28:29], off
	global_load_dwordx2 v[28:29], v[32:33], off
	;; [unrolled: 1-line block ×5, first 2 shown]
.LBB0_11:
	s_or_b32 exec_lo, exec_lo, s14
	s_and_saveexec_b32 s1, s0
	s_cbranch_execz .LBB0_13
; %bb.12:
	s_waitcnt vmcnt(0)
	v_add_f32_e32 v44, v30, v48
	v_sub_f32_e32 v36, v31, v49
	v_add_f32_e32 v46, v26, v50
	v_sub_f32_e32 v37, v27, v51
	v_add_f32_e32 v45, v18, v40
	v_mul_f32_e32 v47, 0xbf7ba420, v44
	v_sub_f32_e32 v35, v19, v41
	v_mul_f32_e32 v53, 0x3f6eb680, v46
	v_add_f32_e32 v39, v20, v28
	v_mul_f32_e32 v55, 0xbf59a7d5, v45
	v_fmamk_f32 v34, v36, 0x3e3c28d5, v47
	v_sub_f32_e32 v32, v21, v29
	v_fmamk_f32 v43, v37, 0xbeb8f4ab, v53
	v_add_f32_e32 v42, v10, v24
	v_mul_f32_e32 v56, 0x3f3d2fb0, v39
	v_add_f32_e32 v54, v22, v34
	v_fmamk_f32 v57, v35, 0x3f06c442, v55
	v_sub_f32_e32 v33, v11, v25
	v_add_f32_e32 v38, v6, v16
	v_mul_f32_e32 v58, 0xbf1a4643, v42
	v_add_f32_e32 v54, v54, v43
	v_fmamk_f32 v59, v32, 0xbf2c7751, v56
	v_fmac_f32_e32 v47, 0xbe3c28d5, v36
	v_sub_f32_e32 v34, v7, v17
	v_add_f32_e32 v43, v0, v8
	v_add_f32_e32 v54, v54, v57
	v_mul_f32_e32 v57, 0x3ee437d1, v38
	v_fmamk_f32 v60, v33, 0x3f4c4adb, v58
	v_fmac_f32_e32 v53, 0x3eb8f4ab, v37
	v_add_f32_e32 v61, v22, v47
	v_add_f32_e32 v54, v54, v59
	v_sub_f32_e32 v47, v1, v9
	v_fmamk_f32 v59, v34, 0xbf65296c, v57
	v_fmac_f32_e32 v55, 0xbf06c442, v35
	v_add_f32_e32 v53, v61, v53
	v_add_f32_e32 v60, v60, v54
	v_mul_f32_e32 v61, 0xbe8c1d8e, v43
	v_add_f32_e32 v54, v2, v4
	v_fmac_f32_e32 v56, 0x3f2c7751, v32
	v_add_f32_e32 v55, v53, v55
	v_add_f32_e32 v59, v59, v60
	v_fmamk_f32 v60, v47, 0x3f763a35, v61
	v_mul_f32_e32 v63, 0xbf59a7d5, v44
	v_mul_f32_e32 v62, 0x3dbcf732, v54
	v_sub_f32_e32 v53, v3, v5
	v_add_f32_e32 v55, v55, v56
	v_add_f32_e32 v56, v60, v59
	v_fmamk_f32 v60, v36, 0x3f06c442, v63
	v_mul_f32_e32 v64, 0x3ee437d1, v46
	v_fmac_f32_e32 v58, 0xbf4c4adb, v33
	v_fmamk_f32 v59, v53, 0xbf7ee86f, v62
	v_fmac_f32_e32 v63, 0xbf06c442, v36
	v_add_f32_e32 v60, v22, v60
	v_fmamk_f32 v65, v37, 0xbf65296c, v64
	v_mul_f32_e32 v66, 0x3dbcf732, v45
	v_add_f32_e32 v58, v58, v55
	v_fmac_f32_e32 v57, 0x3f65296c, v34
	v_add_f32_e32 v63, v22, v63
	v_fmac_f32_e32 v64, 0x3f65296c, v37
	v_add_f32_e32 v55, v59, v56
	v_add_f32_e32 v56, v60, v65
	v_fmamk_f32 v59, v35, 0x3f7ee86f, v66
	v_mul_f32_e32 v60, 0xbf1a4643, v39
	v_add_f32_e32 v63, v63, v64
	v_fmac_f32_e32 v66, 0xbf7ee86f, v35
	v_add_f32_e32 v57, v57, v58
	v_add_f32_e32 v56, v56, v59
	v_fmamk_f32 v58, v32, 0xbf4c4adb, v60
	v_mul_f32_e32 v59, 0x3f6eb680, v42
	v_add_f32_e32 v63, v63, v66
	v_fmac_f32_e32 v60, 0x3f4c4adb, v32
	v_fmac_f32_e32 v61, 0xbf763a35, v47
	v_add_f32_e32 v56, v56, v58
	v_fmamk_f32 v58, v33, 0x3eb8f4ab, v59
	v_mul_f32_e32 v64, 0xbf7ba420, v38
	v_add_f32_e32 v60, v63, v60
	v_fmac_f32_e32 v59, 0xbeb8f4ab, v33
	v_add_f32_e32 v57, v61, v57
	v_add_f32_e32 v56, v58, v56
	v_fmamk_f32 v58, v34, 0x3e3c28d5, v64
	v_mul_f32_e32 v61, 0x3f3d2fb0, v43
	v_add_f32_e32 v59, v59, v60
	v_fmac_f32_e32 v64, 0xbe3c28d5, v34
	v_fmac_f32_e32 v62, 0x3f7ee86f, v53
	v_add_f32_e32 v58, v58, v56
	v_fmamk_f32 v60, v47, 0xbf2c7751, v61
	v_mul_f32_e32 v65, 0xbf1a4643, v44
	v_add_f32_e32 v59, v64, v59
	v_fmac_f32_e32 v61, 0x3f2c7751, v47
	v_add_f32_e32 v56, v62, v57
	v_add_f32_e32 v57, v60, v58
	v_fmamk_f32 v58, v36, 0x3f4c4adb, v65
	v_mul_f32_e32 v60, 0xbe8c1d8e, v46
	v_fmac_f32_e32 v65, 0xbf4c4adb, v36
	v_mul_f32_e32 v63, 0xbe8c1d8e, v54
	v_add_f32_e32 v59, v61, v59
	v_add_f32_e32 v58, v22, v58
	v_fmamk_f32 v61, v37, 0xbf763a35, v60
	v_mul_f32_e32 v64, 0x3f6eb680, v45
	v_add_f32_e32 v65, v22, v65
	v_fmac_f32_e32 v60, 0x3f763a35, v37
	v_fmamk_f32 v62, v53, 0x3f763a35, v63
	v_add_f32_e32 v58, v58, v61
	v_fmamk_f32 v61, v35, 0x3eb8f4ab, v64
	v_mul_f32_e32 v66, 0xbf59a7d5, v39
	v_add_f32_e32 v60, v65, v60
	v_fmac_f32_e32 v64, 0xbeb8f4ab, v35
	v_fmac_f32_e32 v63, 0xbf763a35, v53
	v_add_f32_e32 v57, v62, v57
	v_add_f32_e32 v58, v58, v61
	v_fmamk_f32 v61, v32, 0x3f06c442, v66
	v_mul_f32_e32 v62, 0x3dbcf732, v42
	v_add_f32_e32 v60, v60, v64
	v_fmac_f32_e32 v66, 0xbf06c442, v32
	v_mul_f32_e32 v64, 0xbe8c1d8e, v44
	v_add_f32_e32 v59, v63, v59
	v_add_f32_e32 v58, v58, v61
	v_fmamk_f32 v61, v33, 0xbf7ee86f, v62
	v_mul_f32_e32 v63, 0x3f3d2fb0, v38
	v_add_f32_e32 v60, v60, v66
	v_fmac_f32_e32 v62, 0x3f7ee86f, v33
	v_fmamk_f32 v65, v36, 0x3f763a35, v64
	v_mul_f32_e32 v66, 0xbf59a7d5, v46
	v_add_f32_e32 v58, v61, v58
	v_fmamk_f32 v61, v34, 0x3f2c7751, v63
	v_add_f32_e32 v60, v62, v60
	v_mul_f32_e32 v62, 0xbf7ba420, v43
	v_fmac_f32_e32 v63, 0xbf2c7751, v34
	v_add_f32_e32 v65, v22, v65
	v_fmamk_f32 v67, v37, 0xbf06c442, v66
	v_mul_f32_e32 v68, 0x3f3d2fb0, v45
	v_add_f32_e32 v58, v61, v58
	v_fmamk_f32 v61, v47, 0x3e3c28d5, v62
	v_add_f32_e32 v60, v63, v60
	v_add_f32_e32 v63, v65, v67
	v_fmamk_f32 v65, v35, 0xbf2c7751, v68
	v_mul_f32_e32 v67, 0x3ee437d1, v39
	v_fmac_f32_e32 v62, 0xbe3c28d5, v47
	v_add_f32_e32 v58, v61, v58
	v_fmac_f32_e32 v64, 0xbf763a35, v36
	v_add_f32_e32 v61, v63, v65
	v_fmamk_f32 v63, v32, 0x3f65296c, v67
	v_mul_f32_e32 v65, 0xbf7ba420, v42
	v_add_f32_e32 v60, v62, v60
	v_mul_f32_e32 v69, 0x3ee437d1, v54
	v_add_f32_e32 v64, v22, v64
	v_add_f32_e32 v61, v61, v63
	v_fmamk_f32 v62, v33, 0x3e3c28d5, v65
	v_mul_f32_e32 v63, 0x3dbcf732, v38
	v_fmac_f32_e32 v66, 0x3f06c442, v37
	v_mul_f32_e32 v71, 0x3f6eb680, v43
	v_fmamk_f32 v70, v53, 0xbf65296c, v69
	v_add_f32_e32 v61, v62, v61
	v_fmamk_f32 v62, v34, 0xbf7ee86f, v63
	v_fmac_f32_e32 v69, 0x3f65296c, v53
	v_add_f32_e32 v64, v64, v66
	v_fmac_f32_e32 v68, 0x3f2c7751, v35
	v_mul_f32_e32 v66, 0x3dbcf732, v44
	v_add_f32_e32 v61, v62, v61
	v_fmamk_f32 v62, v47, 0x3eb8f4ab, v71
	v_add_f32_e32 v60, v69, v60
	v_add_f32_e32 v64, v64, v68
	v_fmac_f32_e32 v67, 0xbf65296c, v32
	v_fmamk_f32 v68, v36, 0x3f7ee86f, v66
	v_add_f32_e32 v61, v62, v61
	v_mul_f32_e32 v62, 0xbf1a4643, v54
	v_mul_f32_e32 v69, 0xbf7ba420, v46
	v_add_f32_e32 v58, v70, v58
	v_add_f32_e32 v64, v64, v67
	v_fmac_f32_e32 v65, 0xbe3c28d5, v33
	v_fmamk_f32 v67, v53, 0x3f4c4adb, v62
	v_add_f32_e32 v68, v22, v68
	v_fmamk_f32 v70, v37, 0x3e3c28d5, v69
	v_mul_f32_e32 v72, 0xbe8c1d8e, v45
	v_add_f32_e32 v64, v65, v64
	v_fmac_f32_e32 v63, 0x3f7ee86f, v34
	v_add_f32_e32 v61, v67, v61
	v_add_f32_e32 v65, v68, v70
	v_fmamk_f32 v67, v35, 0xbf763a35, v72
	v_mul_f32_e32 v68, 0x3f6eb680, v39
	v_add_f32_e32 v63, v63, v64
	v_fmac_f32_e32 v66, 0xbf7ee86f, v36
	v_fmac_f32_e32 v71, 0xbeb8f4ab, v47
	v_add_f32_e32 v64, v65, v67
	v_fmamk_f32 v65, v32, 0xbeb8f4ab, v68
	v_mul_f32_e32 v67, 0x3ee437d1, v42
	v_add_f32_e32 v66, v22, v66
	v_fmac_f32_e32 v69, 0xbe3c28d5, v37
	v_mul_f32_e32 v70, 0xbf59a7d5, v38
	v_add_f32_e32 v64, v64, v65
	v_fmamk_f32 v65, v33, 0x3f65296c, v67
	v_add_f32_e32 v63, v71, v63
	v_fmac_f32_e32 v62, 0xbf4c4adb, v53
	v_add_f32_e32 v66, v66, v69
	v_fmac_f32_e32 v72, 0x3f763a35, v35
	v_add_f32_e32 v64, v65, v64
	v_fmamk_f32 v65, v34, 0x3f06c442, v70
	v_mul_f32_e32 v69, 0xbf1a4643, v43
	v_add_f32_e32 v62, v62, v63
	v_add_f32_e32 v63, v66, v72
	v_fmac_f32_e32 v68, 0x3eb8f4ab, v32
	v_add_f32_e32 v64, v65, v64
	v_fmamk_f32 v65, v47, 0xbf4c4adb, v69
	v_mul_f32_e32 v66, 0x3ee437d1, v44
	v_fmac_f32_e32 v67, 0xbf65296c, v33
	v_add_f32_e32 v63, v63, v68
	v_mul_f32_e32 v68, 0xbf1a4643, v46
	v_add_f32_e32 v64, v65, v64
	v_fmamk_f32 v65, v36, 0x3f65296c, v66
	v_mul_f32_e32 v71, 0x3f3d2fb0, v54
	v_add_f32_e32 v63, v67, v63
	v_fmac_f32_e32 v70, 0xbf06c442, v34
	v_fmamk_f32 v67, v37, 0x3f4c4adb, v68
	v_add_f32_e32 v65, v22, v65
	v_mul_f32_e32 v73, 0xbf7ba420, v45
	v_fmamk_f32 v72, v53, 0xbf2c7751, v71
	v_add_f32_e32 v63, v70, v63
	v_fmac_f32_e32 v66, 0xbf65296c, v36
	v_add_f32_e32 v65, v65, v67
	v_fmamk_f32 v67, v35, 0xbe3c28d5, v73
	v_mul_f32_e32 v70, 0xbe8c1d8e, v39
	v_add_f32_e32 v64, v72, v64
	v_add_f32_e32 v66, v22, v66
	v_fmac_f32_e32 v68, 0xbf4c4adb, v37
	v_add_f32_e32 v65, v65, v67
	v_fmamk_f32 v67, v32, 0xbf763a35, v70
	v_mul_f32_e32 v72, 0x3f3d2fb0, v42
	v_fmac_f32_e32 v69, 0x3f4c4adb, v47
	v_add_f32_e32 v66, v66, v68
	v_fmac_f32_e32 v73, 0x3e3c28d5, v35
	v_add_f32_e32 v65, v65, v67
	v_fmamk_f32 v67, v33, 0xbf2c7751, v72
	v_mul_f32_e32 v68, 0x3f6eb680, v38
	v_add_f32_e32 v63, v69, v63
	v_add_f32_e32 v66, v66, v73
	v_fmac_f32_e32 v70, 0x3f763a35, v32
	v_add_f32_e32 v65, v67, v65
	v_fmamk_f32 v67, v34, 0x3eb8f4ab, v68
	v_mul_f32_e32 v69, 0x3f3d2fb0, v44
	v_fmac_f32_e32 v71, 0x3f2c7751, v53
	v_add_f32_e32 v66, v66, v70
	v_fmac_f32_e32 v72, 0x3f2c7751, v33
	v_add_f32_e32 v65, v67, v65
	v_fmamk_f32 v67, v36, 0x3f2c7751, v69
	v_mul_f32_e32 v70, 0x3dbcf732, v46
	v_add_f32_e32 v63, v71, v63
	v_mul_f32_e32 v71, 0x3dbcf732, v43
	v_add_f32_e32 v66, v72, v66
	v_fmac_f32_e32 v68, 0xbeb8f4ab, v34
	v_add_f32_e32 v67, v22, v67
	v_fmamk_f32 v72, v37, 0x3f7ee86f, v70
	v_mul_f32_e32 v73, 0xbf1a4643, v45
	v_fmamk_f32 v74, v47, 0x3f7ee86f, v71
	v_add_f32_e32 v66, v68, v66
	v_fmac_f32_e32 v71, 0xbf7ee86f, v47
	v_add_f32_e32 v67, v67, v72
	v_fmamk_f32 v68, v35, 0x3f4c4adb, v73
	v_mul_f32_e32 v72, 0xbf7ba420, v39
	v_fmac_f32_e32 v69, 0xbf2c7751, v36
	v_add_f32_e32 v66, v71, v66
	v_mul_f32_e32 v71, 0xbf59a7d5, v42
	v_add_f32_e32 v67, v67, v68
	v_fmamk_f32 v68, v32, 0x3e3c28d5, v72
	v_mul_f32_e32 v76, 0xbe8c1d8e, v38
	v_add_f32_e32 v69, v22, v69
	v_fmac_f32_e32 v70, 0xbf7ee86f, v37
	v_add_f32_e32 v77, v22, v30
	v_add_f32_e32 v67, v67, v68
	v_fmamk_f32 v68, v33, 0xbf06c442, v71
	v_mul_f32_e32 v78, 0x3ee437d1, v43
	v_add_f32_e32 v69, v69, v70
	v_add_f32_e32 v70, v77, v26
	v_mul_f32_e32 v44, 0x3f6eb680, v44
	v_add_f32_e32 v67, v68, v67
	v_fmamk_f32 v68, v34, 0xbf763a35, v76
	v_mul_f32_e32 v46, 0x3f3d2fb0, v46
	v_add_f32_e32 v70, v70, v18
	v_mul_f32_e32 v39, 0x3dbcf732, v39
	v_fmac_f32_e32 v72, 0xbe3c28d5, v32
	v_add_f32_e32 v67, v68, v67
	v_fmamk_f32 v68, v47, 0xbf65296c, v78
	v_mul_f32_e32 v45, 0x3ee437d1, v45
	v_fmac_f32_e32 v73, 0xbf4c4adb, v35
	v_mul_f32_e32 v42, 0xbe8c1d8e, v42
	v_fmac_f32_e32 v71, 0x3f06c442, v33
	v_add_f32_e32 v67, v68, v67
	v_add_f32_e32 v68, v70, v20
	v_fmamk_f32 v70, v36, 0x3eb8f4ab, v44
	v_fmac_f32_e32 v44, 0xbeb8f4ab, v36
	v_add_f32_e32 v69, v69, v73
	v_fmac_f32_e32 v76, 0x3f763a35, v34
	v_add_f32_e32 v36, v68, v10
	v_fmamk_f32 v68, v37, 0x3f2c7751, v46
	v_fmac_f32_e32 v46, 0xbf2c7751, v37
	v_add_f32_e32 v37, v22, v44
	v_add_f32_e32 v22, v22, v70
	;; [unrolled: 1-line block ×3, first 2 shown]
	v_fmamk_f32 v44, v35, 0x3f65296c, v45
	v_fmac_f32_e32 v45, 0xbf65296c, v35
	v_add_f32_e32 v37, v37, v46
	v_fmamk_f32 v46, v32, 0x3f7ee86f, v39
	v_add_f32_e32 v36, v36, v0
	v_fmac_f32_e32 v39, 0xbf7ee86f, v32
	v_add_f32_e32 v22, v22, v68
	v_add_f32_e32 v37, v37, v45
	;; [unrolled: 1-line block ×9, first 2 shown]
	v_fmamk_f32 v36, v33, 0x3f763a35, v42
	v_fmac_f32_e32 v42, 0xbf763a35, v33
	v_mul_f32_e32 v33, 0xbf1a4643, v38
	v_add_f32_e32 v22, v22, v46
	v_add_f32_e32 v32, v32, v8
	v_mul_f32_e32 v39, 0xbf7ba420, v54
	v_add_f32_e32 v37, v42, v37
	v_fmamk_f32 v38, v34, 0x3f4c4adb, v33
	v_fmac_f32_e32 v33, 0xbf4c4adb, v34
	v_add_f32_e32 v32, v32, v16
	v_mul_f32_e32 v34, 0xbf59a7d5, v43
	v_add_f32_e32 v22, v36, v22
	v_mul_f32_e32 v74, 0xbf59a7d5, v54
	v_add_f32_e32 v33, v33, v37
	v_add_f32_e32 v32, v32, v24
	v_fmamk_f32 v36, v47, 0x3f06c442, v34
	v_fmac_f32_e32 v34, 0xbf06c442, v47
	v_add_f32_e32 v35, v76, v35
	v_fmac_f32_e32 v78, 0x3f65296c, v47
	v_add_f32_e32 v32, v32, v28
	v_mul_f32_e32 v37, 0x3f6eb680, v54
	v_add_f32_e32 v22, v38, v22
	v_add_f32_e32 v33, v34, v33
	v_fmamk_f32 v34, v53, 0x3e3c28d5, v39
	v_add_f32_e32 v32, v40, v32
	v_fmac_f32_e32 v39, 0xbe3c28d5, v53
	v_fmamk_f32 v75, v53, 0x3f06c442, v74
	v_fmac_f32_e32 v74, 0xbf06c442, v53
	v_fmamk_f32 v38, v53, 0xbeb8f4ab, v37
	v_add_f32_e32 v32, v50, v32
	v_add_f32_e32 v35, v78, v35
	v_fmac_f32_e32 v37, 0x3eb8f4ab, v53
	v_add_f32_e32 v22, v36, v22
	v_add_f32_e32 v33, v39, v33
	;; [unrolled: 1-line block ×3, first 2 shown]
	v_mad_u32_u24 v36, 0x44, v52, 0
	v_add_f32_e32 v66, v74, v66
	v_add_f32_e32 v35, v37, v35
	;; [unrolled: 1-line block ×5, first 2 shown]
	ds_write2_b32 v36, v32, v33 offset1:1
	ds_write2_b32 v36, v35, v66 offset0:2 offset1:3
	ds_write2_b32 v36, v63, v62 offset0:4 offset1:5
	;; [unrolled: 1-line block ×7, first 2 shown]
	ds_write_b32 v36, v22 offset:64
.LBB0_13:
	s_or_b32 exec_lo, exec_lo, s1
	v_lshl_add_u32 v53, v52, 2, 0
	s_waitcnt vmcnt(0) lgkmcnt(0)
	s_barrier
	buffer_gl0_inv
	v_add_nc_u32_e32 v22, 0xa00, v53
	v_add_nc_u32_e32 v54, 0xe00, v53
	;; [unrolled: 1-line block ×6, first 2 shown]
	ds_read2_b32 v[32:33], v53 offset1:119
	ds_read2_b32 v[36:37], v22 offset0:74 offset1:193
	ds_read2_b32 v[42:43], v54 offset0:56 offset1:175
	;; [unrolled: 1-line block ×6, first 2 shown]
	s_waitcnt lgkmcnt(0)
	s_barrier
	buffer_gl0_inv
	s_and_saveexec_b32 s1, s0
	s_cbranch_execz .LBB0_15
; %bb.14:
	v_add_f32_e32 v59, v23, v31
	v_sub_f32_e32 v30, v30, v48
	v_add_f32_e32 v48, v27, v51
	v_add_f32_e32 v31, v31, v49
	v_sub_f32_e32 v26, v26, v50
	v_add_f32_e32 v27, v59, v27
	v_mul_f32_e32 v50, 0xbeb8f4ab, v30
	v_mul_f32_e32 v59, 0xbf2c7751, v30
	v_mul_f32_e32 v60, 0xbf65296c, v30
	v_mul_f32_e32 v61, 0xbf7ee86f, v30
	v_add_f32_e32 v27, v27, v19
	v_mul_f32_e32 v62, 0xbf763a35, v30
	v_mul_f32_e32 v63, 0xbf4c4adb, v30
	;; [unrolled: 1-line block ×4, first 2 shown]
	v_add_f32_e32 v27, v27, v21
	v_mul_f32_e32 v65, 0xbf2c7751, v26
	v_fma_f32 v69, 0x3f6eb680, v31, -v50
	v_fmac_f32_e32 v50, 0x3f6eb680, v31
	v_fma_f32 v70, 0x3f3d2fb0, v31, -v59
	v_add_f32_e32 v27, v27, v11
	v_fmac_f32_e32 v59, 0x3f3d2fb0, v31
	v_fma_f32 v71, 0x3ee437d1, v31, -v60
	v_fmac_f32_e32 v60, 0x3ee437d1, v31
	v_fma_f32 v72, 0x3dbcf732, v31, -v61
	v_add_f32_e32 v27, v27, v7
	v_fmac_f32_e32 v61, 0x3dbcf732, v31
	;; [unrolled: 5-line block ×4, first 2 shown]
	v_mul_f32_e32 v67, 0xbf4c4adb, v26
	v_mul_f32_e32 v68, 0xbe3c28d5, v26
	v_fma_f32 v31, 0x3f3d2fb0, v48, -v65
	v_add_f32_e32 v27, v27, v5
	v_fmac_f32_e32 v65, 0x3f3d2fb0, v48
	v_add_f32_e32 v69, v23, v69
	v_add_f32_e32 v50, v23, v50
	;; [unrolled: 1-line block ×20, first 2 shown]
	v_fma_f32 v78, 0xbf1a4643, v48, -v67
	v_fmac_f32_e32 v67, 0xbf1a4643, v48
	v_fma_f32 v79, 0xbf7ba420, v48, -v68
	v_add_f32_e32 v27, v41, v27
	v_fmac_f32_e32 v68, 0xbf7ba420, v48
	v_mul_f32_e32 v66, 0xbf7ee86f, v26
	v_add_f32_e32 v31, v69, v31
	v_add_f32_e32 v60, v60, v67
	;; [unrolled: 1-line block ×4, first 2 shown]
	v_mul_f32_e32 v65, 0x3f763a35, v26
	v_add_f32_e32 v61, v61, v68
	v_mul_f32_e32 v69, 0x3f65296c, v26
	v_add_f32_e32 v23, v49, v23
	v_mul_f32_e32 v49, 0x3f06c442, v26
	v_fma_f32 v68, 0xbe8c1d8e, v48, -v65
	v_fmac_f32_e32 v65, 0xbe8c1d8e, v48
	v_mul_f32_e32 v26, 0x3eb8f4ab, v26
	v_sub_f32_e32 v18, v18, v40
	v_fma_f32 v67, 0xbf59a7d5, v48, -v49
	v_fmac_f32_e32 v49, 0xbf59a7d5, v48
	v_add_f32_e32 v63, v63, v65
	v_fma_f32 v65, 0x3f6eb680, v48, -v26
	v_add_f32_e32 v19, v19, v41
	v_mul_f32_e32 v41, 0xbf65296c, v18
	v_add_f32_e32 v49, v62, v49
	v_add_f32_e32 v62, v74, v68
	v_fma_f32 v68, 0x3ee437d1, v48, -v69
	v_fmac_f32_e32 v26, 0x3f6eb680, v48
	v_fma_f32 v77, 0x3dbcf732, v48, -v66
	v_fmac_f32_e32 v66, 0x3dbcf732, v48
	v_fmac_f32_e32 v69, 0x3ee437d1, v48
	v_add_f32_e32 v40, v75, v68
	v_fma_f32 v68, 0x3ee437d1, v19, -v41
	v_fmac_f32_e32 v41, 0x3ee437d1, v19
	v_add_f32_e32 v26, v30, v26
	v_mul_f32_e32 v30, 0x3e3c28d5, v18
	v_add_f32_e32 v51, v59, v66
	v_add_f32_e32 v59, v71, v78
	;; [unrolled: 1-line block ×3, first 2 shown]
	v_mul_f32_e32 v65, 0xbf4c4adb, v18
	v_add_f32_e32 v27, v27, v41
	v_fma_f32 v41, 0xbf7ba420, v19, -v30
	v_add_f32_e32 v50, v70, v77
	v_add_f32_e32 v64, v64, v69
	v_fma_f32 v69, 0xbf1a4643, v19, -v65
	v_add_f32_e32 v31, v31, v68
	v_fmac_f32_e32 v65, 0xbf1a4643, v19
	v_mul_f32_e32 v68, 0x3f763a35, v18
	v_fmac_f32_e32 v30, 0xbf7ba420, v19
	v_add_f32_e32 v41, v59, v41
	v_mul_f32_e32 v59, 0x3f2c7751, v18
	v_add_f32_e32 v66, v72, v79
	v_add_f32_e32 v50, v50, v69
	;; [unrolled: 1-line block ×3, first 2 shown]
	v_fma_f32 v65, 0xbe8c1d8e, v19, -v68
	v_add_f32_e32 v30, v60, v30
	v_mul_f32_e32 v60, 0xbeb8f4ab, v18
	v_fma_f32 v69, 0x3f3d2fb0, v19, -v59
	v_fmac_f32_e32 v59, 0x3f3d2fb0, v19
	v_add_f32_e32 v65, v66, v65
	v_sub_f32_e32 v20, v20, v28
	v_fma_f32 v66, 0x3f6eb680, v19, -v60
	v_fmac_f32_e32 v60, 0x3f6eb680, v19
	v_add_f32_e32 v49, v49, v59
	v_mul_f32_e32 v59, 0xbf7ee86f, v18
	v_mul_f32_e32 v18, 0xbf06c442, v18
	v_add_f32_e32 v21, v21, v29
	v_add_f32_e32 v60, v63, v60
	v_mul_f32_e32 v29, 0xbf7ee86f, v20
	v_fma_f32 v28, 0x3dbcf732, v19, -v59
	v_fmac_f32_e32 v59, 0x3dbcf732, v19
	v_fma_f32 v63, 0xbf59a7d5, v19, -v18
	v_fmac_f32_e32 v18, 0xbf59a7d5, v19
	v_fmac_f32_e32 v68, 0xbe8c1d8e, v19
	v_add_f32_e32 v28, v40, v28
	v_add_f32_e32 v19, v64, v59
	;; [unrolled: 1-line block ×3, first 2 shown]
	v_fma_f32 v48, 0x3dbcf732, v21, -v29
	v_mul_f32_e32 v59, 0xbe3c28d5, v20
	v_add_f32_e32 v18, v26, v18
	v_fmac_f32_e32 v29, 0x3dbcf732, v21
	v_mul_f32_e32 v26, 0x3f763a35, v20
	v_add_f32_e32 v31, v31, v48
	v_fma_f32 v48, 0xbf7ba420, v21, -v59
	v_fmac_f32_e32 v59, 0xbf7ba420, v21
	v_add_f32_e32 v27, v27, v29
	v_fma_f32 v29, 0xbe8c1d8e, v21, -v26
	v_mul_f32_e32 v63, 0x3eb8f4ab, v20
	v_fmac_f32_e32 v26, 0xbe8c1d8e, v21
	v_add_f32_e32 v61, v61, v68
	v_add_f32_e32 v48, v50, v48
	;; [unrolled: 1-line block ×4, first 2 shown]
	v_fma_f32 v41, 0x3f6eb680, v21, -v63
	v_mul_f32_e32 v51, 0xbf65296c, v20
	v_fmac_f32_e32 v63, 0x3f6eb680, v21
	v_add_f32_e32 v26, v30, v26
	v_mul_f32_e32 v30, 0xbf06c442, v20
	v_add_f32_e32 v62, v62, v66
	v_fma_f32 v59, 0x3ee437d1, v21, -v51
	v_add_f32_e32 v61, v61, v63
	v_fmac_f32_e32 v51, 0x3ee437d1, v21
	v_fma_f32 v63, 0xbf59a7d5, v21, -v30
	v_mul_f32_e32 v64, 0x3f4c4adb, v20
	v_mul_f32_e32 v20, 0x3f2c7751, v20
	v_sub_f32_e32 v10, v10, v24
	v_add_f32_e32 v49, v49, v51
	v_add_f32_e32 v51, v62, v63
	v_fma_f32 v62, 0xbf1a4643, v21, -v64
	v_add_f32_e32 v11, v11, v25
	v_mul_f32_e32 v25, 0xbf763a35, v10
	v_fmac_f32_e32 v30, 0xbf59a7d5, v21
	v_fmac_f32_e32 v64, 0xbf1a4643, v21
	v_add_f32_e32 v24, v28, v62
	v_fma_f32 v28, 0x3f3d2fb0, v21, -v20
	v_fmac_f32_e32 v20, 0x3f3d2fb0, v21
	v_add_f32_e32 v30, v60, v30
	v_add_f32_e32 v41, v65, v41
	v_sub_f32_e32 v6, v6, v16
	v_add_f32_e32 v21, v40, v28
	v_fma_f32 v40, 0xbe8c1d8e, v11, -v25
	v_fmac_f32_e32 v25, 0xbe8c1d8e, v11
	v_add_f32_e32 v18, v18, v20
	v_mul_f32_e32 v20, 0x3f2c7751, v10
	v_mul_f32_e32 v28, 0x3f06c442, v10
	v_add_f32_e32 v31, v40, v31
	v_add_f32_e32 v25, v25, v27
	;; [unrolled: 1-line block ×3, first 2 shown]
	v_fma_f32 v27, 0x3f3d2fb0, v11, -v20
	v_fma_f32 v60, 0xbf59a7d5, v11, -v28
	v_fmac_f32_e32 v28, 0xbf59a7d5, v11
	v_fmac_f32_e32 v20, 0x3f3d2fb0, v11
	v_mul_f32_e32 v17, 0xbf4c4adb, v6
	v_add_f32_e32 v27, v27, v29
	v_mul_f32_e32 v29, 0xbe3c28d5, v10
	v_add_f32_e32 v40, v60, v48
	;; [unrolled: 2-line block ×3, first 2 shown]
	v_add_f32_e32 v20, v20, v26
	v_fma_f32 v60, 0xbf7ba420, v11, -v29
	v_fmac_f32_e32 v29, 0xbf7ba420, v11
	v_fma_f32 v50, 0x3ee437d1, v11, -v48
	v_mul_f32_e32 v26, 0x3f7ee86f, v10
	v_fmac_f32_e32 v48, 0x3ee437d1, v11
	v_sub_f32_e32 v0, v0, v8
	v_add_f32_e32 v29, v29, v49
	v_mul_f32_e32 v49, 0xbeb8f4ab, v10
	v_add_f32_e32 v41, v50, v41
	v_fma_f32 v50, 0x3dbcf732, v11, -v26
	v_fmac_f32_e32 v26, 0x3dbcf732, v11
	v_mul_f32_e32 v10, 0xbf4c4adb, v10
	v_fma_f32 v16, 0x3f6eb680, v11, -v49
	v_fmac_f32_e32 v49, 0x3f6eb680, v11
	v_add_f32_e32 v19, v19, v64
	v_add_f32_e32 v26, v26, v30
	v_fma_f32 v30, 0xbf1a4643, v11, -v10
	v_add_f32_e32 v16, v16, v24
	v_mul_f32_e32 v24, 0x3f763a35, v6
	v_fmac_f32_e32 v10, 0xbf1a4643, v11
	v_add_f32_e32 v1, v1, v9
	v_add_f32_e32 v11, v30, v21
	v_fma_f32 v21, 0xbf1a4643, v7, -v17
	v_fma_f32 v30, 0xbe8c1d8e, v7, -v24
	v_fmac_f32_e32 v24, 0xbe8c1d8e, v7
	v_fmac_f32_e32 v17, 0xbf1a4643, v7
	v_add_f32_e32 v10, v10, v18
	v_mul_f32_e32 v18, 0xbeb8f4ab, v6
	v_add_f32_e32 v21, v21, v31
	v_add_f32_e32 v24, v24, v28
	v_mul_f32_e32 v28, 0x3f7ee86f, v6
	v_add_f32_e32 v17, v17, v25
	v_fma_f32 v25, 0x3f6eb680, v7, -v18
	v_mul_f32_e32 v31, 0xbf06c442, v6
	v_add_f32_e32 v30, v30, v40
	v_fmac_f32_e32 v18, 0x3f6eb680, v7
	v_fma_f32 v40, 0x3dbcf732, v7, -v28
	v_fmac_f32_e32 v28, 0x3dbcf732, v7
	v_add_f32_e32 v25, v25, v27
	v_fma_f32 v27, 0xbf59a7d5, v7, -v31
	v_add_f32_e32 v18, v18, v20
	v_mul_f32_e32 v20, 0xbf2c7751, v6
	v_add_f32_e32 v28, v28, v29
	v_mul_f32_e32 v29, 0xbe3c28d5, v6
	v_add_f32_e32 v27, v27, v41
	v_mul_f32_e32 v6, 0x3f65296c, v6
	v_fma_f32 v41, 0x3f3d2fb0, v7, -v20
	v_fmac_f32_e32 v20, 0x3f3d2fb0, v7
	v_fma_f32 v8, 0xbf7ba420, v7, -v29
	v_mul_f32_e32 v9, 0xbf06c442, v0
	v_add_f32_e32 v19, v49, v19
	v_fmac_f32_e32 v29, 0xbf7ba420, v7
	v_add_f32_e32 v20, v20, v26
	v_fma_f32 v26, 0x3ee437d1, v7, -v6
	v_add_f32_e32 v8, v8, v16
	v_fmac_f32_e32 v6, 0x3ee437d1, v7
	v_fma_f32 v16, 0xbf59a7d5, v1, -v9
	v_fmac_f32_e32 v31, 0xbf59a7d5, v7
	v_add_f32_e32 v7, v29, v19
	v_mul_f32_e32 v19, 0x3f65296c, v0
	v_add_f32_e32 v6, v6, v10
	v_fmac_f32_e32 v9, 0xbf59a7d5, v1
	v_add_f32_e32 v10, v16, v21
	v_mul_f32_e32 v16, 0xbf7ee86f, v0
	v_add_f32_e32 v11, v26, v11
	v_fma_f32 v21, 0x3ee437d1, v1, -v19
	v_fmac_f32_e32 v19, 0x3ee437d1, v1
	v_add_f32_e32 v9, v9, v17
	v_mul_f32_e32 v17, 0x3f4c4adb, v0
	v_fma_f32 v26, 0x3dbcf732, v1, -v16
	v_fmac_f32_e32 v16, 0x3dbcf732, v1
	v_add_f32_e32 v19, v19, v24
	v_add_f32_e32 v67, v73, v67
	v_fma_f32 v24, 0xbf1a4643, v1, -v17
	v_add_f32_e32 v25, v26, v25
	v_mul_f32_e32 v26, 0xbeb8f4ab, v0
	v_add_f32_e32 v16, v16, v18
	v_mul_f32_e32 v29, 0x3f2c7751, v0
	v_add_f32_e32 v18, v24, v27
	v_add_f32_e32 v67, v67, v69
	v_fma_f32 v27, 0x3f6eb680, v1, -v26
	v_fmac_f32_e32 v26, 0x3f6eb680, v1
	v_mul_f32_e32 v24, 0xbe3c28d5, v0
	v_mul_f32_e32 v0, 0xbf763a35, v0
	v_sub_f32_e32 v2, v2, v4
	v_add_f32_e32 v59, v67, v59
	v_add_f32_e32 v26, v26, v28
	v_fma_f32 v28, 0x3f3d2fb0, v1, -v29
	v_fmac_f32_e32 v29, 0x3f3d2fb0, v1
	v_add_f32_e32 v21, v21, v30
	v_fmac_f32_e32 v17, 0xbf1a4643, v1
	v_fma_f32 v30, 0xbf7ba420, v1, -v24
	v_fmac_f32_e32 v24, 0xbf7ba420, v1
	v_add_f32_e32 v4, v28, v8
	v_fma_f32 v8, 0xbe8c1d8e, v1, -v0
	v_add_f32_e32 v3, v3, v5
	v_mul_f32_e32 v5, 0xbe3c28d5, v2
	v_fmac_f32_e32 v0, 0xbe8c1d8e, v1
	v_add_f32_e32 v1, v29, v7
	v_mul_f32_e32 v7, 0x3eb8f4ab, v2
	v_add_f32_e32 v48, v48, v61
	v_add_f32_e32 v59, v60, v59
	;; [unrolled: 1-line block ×4, first 2 shown]
	v_fma_f32 v11, 0xbf7ba420, v3, -v5
	v_add_f32_e32 v0, v0, v6
	v_fmac_f32_e32 v5, 0xbf7ba420, v3
	v_fma_f32 v6, 0x3f6eb680, v3, -v7
	v_mul_f32_e32 v24, 0xbf06c442, v2
	v_fmac_f32_e32 v7, 0x3f6eb680, v3
	v_add_f32_e32 v31, v31, v48
	v_add_f32_e32 v40, v40, v59
	;; [unrolled: 1-line block ×4, first 2 shown]
	v_fma_f32 v9, 0xbf59a7d5, v3, -v24
	v_mul_f32_e32 v11, 0x3f2c7751, v2
	v_add_f32_e32 v7, v7, v19
	v_fmac_f32_e32 v24, 0xbf59a7d5, v3
	v_mul_f32_e32 v19, 0xbf4c4adb, v2
	v_add_f32_e32 v50, v50, v51
	v_add_f32_e32 v17, v17, v31
	v_add_f32_e32 v27, v27, v40
	v_add_f32_e32 v6, v6, v21
	v_add_f32_e32 v9, v9, v25
	v_fma_f32 v21, 0x3f3d2fb0, v3, -v11
	v_fmac_f32_e32 v11, 0x3f3d2fb0, v3
	v_add_f32_e32 v16, v24, v16
	v_fma_f32 v24, 0xbf1a4643, v3, -v19
	v_mul_f32_e32 v25, 0x3f65296c, v2
	v_add_f32_e32 v41, v41, v50
	v_add_f32_e32 v18, v21, v18
	;; [unrolled: 1-line block ×4, first 2 shown]
	v_fma_f32 v21, 0x3ee437d1, v3, -v25
	v_fmac_f32_e32 v25, 0x3ee437d1, v3
	v_mul_f32_e32 v24, 0xbf763a35, v2
	v_fmac_f32_e32 v19, 0xbf1a4643, v3
	v_mul_f32_e32 v2, 0x3f7ee86f, v2
	v_add_f32_e32 v30, v30, v41
	v_add_f32_e32 v20, v25, v20
	v_fma_f32 v25, 0xbe8c1d8e, v3, -v24
	v_add_f32_e32 v19, v19, v26
	v_fma_f32 v26, 0x3dbcf732, v3, -v2
	v_fmac_f32_e32 v2, 0x3dbcf732, v3
	v_fmac_f32_e32 v24, 0xbe8c1d8e, v3
	v_lshl_add_u32 v3, v52, 6, v53
	v_add_f32_e32 v21, v21, v30
	v_add_f32_e32 v4, v25, v4
	;; [unrolled: 1-line block ×5, first 2 shown]
	ds_write2_b32 v3, v23, v10 offset1:1
	ds_write2_b32 v3, v6, v9 offset0:2 offset1:3
	ds_write2_b32 v3, v18, v17 offset0:4 offset1:5
	;; [unrolled: 1-line block ×7, first 2 shown]
	ds_write_b32 v3, v5 offset:64
.LBB0_15:
	s_or_b32 exec_lo, exec_lo, s1
	v_and_b32_e32 v0, 0xff, v52
	v_add_nc_u32_e32 v30, 0x77, v52
	v_add_nc_u32_e32 v40, 0x1dc, v52
	;; [unrolled: 1-line block ×3, first 2 shown]
	v_mov_b32_e32 v3, 0xf0f1
	v_mul_lo_u16 v29, 0xf1, v0
	v_and_b32_e32 v0, 0xff, v30
	v_add_nc_u32_e32 v41, 0x2ca, v52
	v_add_nc_u32_e32 v31, 0xee, v52
	v_mul_u32_u24_sdwa v1, v2, v3 dst_sel:DWORD dst_unused:UNUSED_PAD src0_sel:WORD_0 src1_sel:DWORD
	v_lshrrev_b16 v59, 12, v29
	v_mul_lo_u16 v60, 0xf1, v0
	v_add_nc_u32_e32 v4, 0x165, v52
	v_mul_u32_u24_sdwa v6, v41, v3 dst_sel:DWORD dst_unused:UNUSED_PAD src0_sel:WORD_0 src1_sel:DWORD
	v_lshrrev_b32_e32 v64, 20, v1
	v_mul_lo_u16 v0, v59, 17
	v_lshrrev_b16 v61, 12, v60
	v_mul_u32_u24_sdwa v5, v31, v3 dst_sel:DWORD dst_unused:UNUSED_PAD src0_sel:WORD_0 src1_sel:DWORD
	v_lshrrev_b32_e32 v65, 20, v6
	v_mov_b32_e32 v8, 3
	v_sub_nc_u16 v62, v52, v0
	v_mul_u32_u24_sdwa v0, v40, v3 dst_sel:DWORD dst_unused:UNUSED_PAD src0_sel:WORD_0 src1_sel:DWORD
	v_mul_lo_u16 v7, v61, 17
	v_mul_u32_u24_sdwa v3, v4, v3 dst_sel:DWORD dst_unused:UNUSED_PAD src0_sel:WORD_0 src1_sel:DWORD
	v_lshrrev_b32_e32 v67, 20, v5
	v_mul_lo_u16 v5, v65, 17
	v_lshrrev_b32_e32 v63, 20, v0
	v_sub_nc_u16 v66, v30, v7
	v_mul_lo_u16 v7, v64, 17
	v_lshrrev_b32_e32 v69, 20, v3
	v_sub_nc_u16 v71, v41, v5
	v_mul_lo_u16 v6, v63, 17
	v_lshlrev_b32_sdwa v9, v8, v62 dst_sel:DWORD dst_unused:UNUSED_PAD src0_sel:DWORD src1_sel:BYTE_0
	v_sub_nc_u16 v70, v2, v7
	v_mul_lo_u16 v2, v67, 17
	v_mul_lo_u16 v5, v69, 17
	v_sub_nc_u16 v68, v40, v6
	s_load_dwordx2 s[0:1], s[4:5], 0x0
	v_lshlrev_b32_sdwa v6, v8, v70 dst_sel:DWORD dst_unused:UNUSED_PAD src0_sel:DWORD src1_sel:WORD_0
	v_sub_nc_u16 v72, v31, v2
	v_sub_nc_u16 v73, v4, v5
	v_lshlrev_b32_sdwa v3, v8, v68 dst_sel:DWORD dst_unused:UNUSED_PAD src0_sel:DWORD src1_sel:WORD_0
	s_waitcnt lgkmcnt(0)
	s_barrier
	buffer_gl0_inv
	s_clause 0x1
	global_load_dwordx2 v[0:1], v9, s[12:13]
	global_load_dwordx2 v[4:5], v6, s[12:13]
	v_lshlrev_b32_sdwa v7, v8, v71 dst_sel:DWORD dst_unused:UNUSED_PAD src0_sel:DWORD src1_sel:WORD_0
	global_load_dwordx2 v[2:3], v3, s[12:13]
	v_lshlrev_b32_sdwa v9, v8, v66 dst_sel:DWORD dst_unused:UNUSED_PAD src0_sel:DWORD src1_sel:BYTE_0
	v_lshlrev_b32_sdwa v10, v8, v72 dst_sel:DWORD dst_unused:UNUSED_PAD src0_sel:DWORD src1_sel:WORD_0
	v_lshlrev_b32_sdwa v16, v8, v73 dst_sel:DWORD dst_unused:UNUSED_PAD src0_sel:DWORD src1_sel:WORD_0
	s_clause 0x3
	global_load_dwordx2 v[6:7], v7, s[12:13]
	global_load_dwordx2 v[8:9], v9, s[12:13]
	;; [unrolled: 1-line block ×4, first 2 shown]
	ds_read2_b32 v[18:19], v53 offset1:119
	ds_read2_b32 v[20:21], v22 offset0:74 offset1:193
	ds_read2_b32 v[23:24], v54 offset0:56 offset1:175
	;; [unrolled: 1-line block ×5, first 2 shown]
	v_mov_b32_e32 v74, 0x88
	ds_read2_b32 v[50:51], v57 offset0:20 offset1:139
	v_mov_b32_e32 v75, 2
	v_mul_u32_u24_e32 v67, 0x88, v67
	v_mul_u32_u24_e32 v69, 0x88, v69
	v_mul_u32_u24_sdwa v59, v59, v74 dst_sel:DWORD dst_unused:UNUSED_PAD src0_sel:WORD_0 src1_sel:DWORD
	v_mul_u32_u24_sdwa v61, v61, v74 dst_sel:DWORD dst_unused:UNUSED_PAD src0_sel:WORD_0 src1_sel:DWORD
	v_lshlrev_b32_sdwa v62, v75, v62 dst_sel:DWORD dst_unused:UNUSED_PAD src0_sel:DWORD src1_sel:BYTE_0
	v_lshrrev_b16 v78, 13, v60
	v_mul_u32_u24_e32 v60, 0x88, v64
	v_mul_u32_u24_e32 v64, 0x88, v65
	v_lshlrev_b32_sdwa v72, v75, v72 dst_sel:DWORD dst_unused:UNUSED_PAD src0_sel:DWORD src1_sel:WORD_0
	v_add3_u32 v59, 0, v59, v62
	v_lshlrev_b32_sdwa v62, v75, v66 dst_sel:DWORD dst_unused:UNUSED_PAD src0_sel:DWORD src1_sel:BYTE_0
	v_lshlrev_b32_sdwa v73, v75, v73 dst_sel:DWORD dst_unused:UNUSED_PAD src0_sel:DWORD src1_sel:WORD_0
	v_lshlrev_b32_sdwa v70, v75, v70 dst_sel:DWORD dst_unused:UNUSED_PAD src0_sel:DWORD src1_sel:WORD_0
	;; [unrolled: 1-line block ×3, first 2 shown]
	v_lshrrev_b16 v29, 13, v29
	v_add3_u32 v61, 0, v61, v62
	v_add3_u32 v66, 0, v67, v72
	;; [unrolled: 1-line block ×5, first 2 shown]
	v_mul_lo_u16 v77, v29, 34
	v_mul_lo_u16 v74, v78, 34
	v_mov_b32_e32 v76, 6
	v_mul_u32_u24_e32 v63, 0x88, v63
	v_lshlrev_b32_sdwa v68, v75, v68 dst_sel:DWORD dst_unused:UNUSED_PAD src0_sel:DWORD src1_sel:WORD_0
	v_sub_nc_u16 v65, v52, v77
	v_sub_nc_u16 v74, v30, v74
	s_waitcnt vmcnt(0) lgkmcnt(0)
	s_barrier
	v_add3_u32 v63, 0, v63, v68
	v_mul_u32_u24_sdwa v77, v65, v76 dst_sel:DWORD dst_unused:UNUSED_PAD src0_sel:BYTE_0 src1_sel:DWORD
	buffer_gl0_inv
	v_lshlrev_b32_e32 v68, 3, v77
	v_mul_f32_e32 v62, v21, v1
	v_mul_f32_e32 v1, v37, v1
	;; [unrolled: 1-line block ×6, first 2 shown]
	v_fmac_f32_e32 v62, v37, v0
	v_mul_f32_e32 v71, v51, v7
	v_mul_f32_e32 v7, v47, v7
	v_fma_f32 v0, v21, v0, -v1
	v_mul_f32_e32 v1, v23, v9
	v_mul_f32_e32 v21, v24, v11
	;; [unrolled: 1-line block ×4, first 2 shown]
	v_fmac_f32_e32 v69, v45, v2
	v_fma_f32 v2, v28, v2, -v3
	v_fmac_f32_e32 v70, v46, v4
	v_fma_f32 v3, v50, v4, -v5
	v_fma_f32 v4, v51, v6, -v7
	v_fmac_f32_e32 v1, v42, v8
	v_mul_f32_e32 v11, v43, v11
	v_mul_f32_e32 v17, v44, v17
	v_fmac_f32_e32 v21, v43, v10
	v_sub_f32_e32 v0, v18, v0
	v_fmac_f32_e32 v37, v44, v16
	v_fmac_f32_e32 v71, v47, v6
	v_fma_f32 v5, v23, v8, -v9
	v_sub_f32_e32 v8, v32, v62
	v_sub_f32_e32 v2, v48, v2
	;; [unrolled: 1-line block ×4, first 2 shown]
	v_fma_f32 v6, v24, v10, -v11
	v_fma_f32 v7, v27, v16, -v17
	v_fma_f32 v17, v18, 2.0, -v0
	v_sub_f32_e32 v18, v34, v21
	v_sub_f32_e32 v21, v35, v37
	;; [unrolled: 1-line block ×5, first 2 shown]
	v_fma_f32 v16, v32, 2.0, -v8
	v_sub_f32_e32 v5, v19, v5
	v_fma_f32 v24, v48, 2.0, -v2
	v_fma_f32 v48, v20, 2.0, -v4
	;; [unrolled: 1-line block ×3, first 2 shown]
	v_sub_f32_e32 v6, v25, v6
	v_fma_f32 v33, v34, 2.0, -v18
	v_sub_f32_e32 v7, v26, v7
	v_fma_f32 v34, v35, 2.0, -v21
	;; [unrolled: 2-line block ×3, first 2 shown]
	v_fma_f32 v27, v39, 2.0, -v10
	v_fma_f32 v28, v36, 2.0, -v11
	ds_write2_b32 v59, v16, v8 offset1:17
	ds_write2_b32 v61, v20, v1 offset1:17
	;; [unrolled: 1-line block ×7, first 2 shown]
	v_mul_u32_u24_sdwa v8, v74, v76 dst_sel:DWORD dst_unused:UNUSED_PAD src0_sel:BYTE_0 src1_sel:DWORD
	v_fma_f32 v19, v19, 2.0, -v5
	v_fma_f32 v25, v25, 2.0, -v6
	;; [unrolled: 1-line block ×4, first 2 shown]
	s_waitcnt lgkmcnt(0)
	s_barrier
	buffer_gl0_inv
	ds_read2_b32 v[20:21], v53 offset1:119
	ds_read2_b32 v[27:28], v56 offset0:110 offset1:229
	ds_read2_b32 v[36:37], v58 offset0:92 offset1:211
	;; [unrolled: 1-line block ×6, first 2 shown]
	s_waitcnt lgkmcnt(0)
	s_barrier
	buffer_gl0_inv
	ds_write2_b32 v59, v17, v0 offset1:17
	ds_write2_b32 v61, v19, v5 offset1:17
	;; [unrolled: 1-line block ×7, first 2 shown]
	v_lshlrev_b32_e32 v32, 3, v8
	s_waitcnt lgkmcnt(0)
	s_barrier
	buffer_gl0_inv
	s_clause 0x5
	global_load_dwordx4 v[0:3], v68, s[12:13] offset:136
	global_load_dwordx4 v[4:7], v68, s[12:13] offset:152
	;; [unrolled: 1-line block ×6, first 2 shown]
	v_mov_b32_e32 v61, 0x3b8
	ds_read2_b32 v[48:49], v56 offset0:110 offset1:229
	ds_read2_b32 v[50:51], v58 offset0:92 offset1:211
	;; [unrolled: 1-line block ×3, first 2 shown]
	v_lshlrev_b32_sdwa v68, v75, v65 dst_sel:DWORD dst_unused:UNUSED_PAD src0_sel:DWORD src1_sel:BYTE_0
	ds_read2_b32 v[63:64], v55 offset0:38 offset1:157
	ds_read2_b32 v[65:66], v57 offset0:20 offset1:139
	v_mul_u32_u24_sdwa v29, v29, v61 dst_sel:DWORD dst_unused:UNUSED_PAD src0_sel:WORD_0 src1_sel:DWORD
	v_mul_u32_u24_sdwa v67, v78, v61 dst_sel:DWORD dst_unused:UNUSED_PAD src0_sel:WORD_0 src1_sel:DWORD
	ds_read2_b32 v[61:62], v54 offset0:56 offset1:175
	v_lshlrev_b32_sdwa v69, v75, v74 dst_sel:DWORD dst_unused:UNUSED_PAD src0_sel:DWORD src1_sel:BYTE_0
	v_add3_u32 v70, 0, v29, v68
	v_add3_u32 v69, 0, v67, v69
	ds_read2_b32 v[67:68], v53 offset1:119
	s_waitcnt vmcnt(0) lgkmcnt(0)
	s_barrier
	buffer_gl0_inv
	v_mul_f32_e32 v74, v63, v9
	v_mul_f32_e32 v29, v48, v1
	;; [unrolled: 1-line block ×24, first 2 shown]
	v_fmac_f32_e32 v29, v27, v0
	v_fma_f32 v0, v48, v0, -v1
	v_fmac_f32_e32 v71, v36, v2
	v_fma_f32 v1, v50, v2, -v3
	v_fma_f32 v2, v59, v4, -v5
	v_fmac_f32_e32 v74, v44, v8
	v_fmac_f32_e32 v75, v46, v10
	v_fma_f32 v5, v65, v10, -v11
	v_fmac_f32_e32 v72, v38, v4
	v_fmac_f32_e32 v73, v42, v6
	v_fma_f32 v3, v61, v6, -v7
	v_fma_f32 v4, v63, v8, -v9
	v_fmac_f32_e32 v76, v28, v16
	v_fma_f32 v6, v49, v16, -v17
	v_fmac_f32_e32 v77, v37, v18
	v_fmac_f32_e32 v80, v45, v32
	;; [unrolled: 1-line block ×3, first 2 shown]
	v_fma_f32 v11, v66, v34, -v35
	v_fma_f32 v7, v51, v18, -v19
	;; [unrolled: 1-line block ×5, first 2 shown]
	v_add_f32_e32 v16, v29, v75
	v_add_f32_e32 v17, v0, v5
	v_sub_f32_e32 v0, v0, v5
	v_add_f32_e32 v5, v71, v74
	v_fmac_f32_e32 v78, v39, v23
	v_fmac_f32_e32 v79, v43, v25
	v_add_f32_e32 v19, v1, v4
	v_sub_f32_e32 v1, v1, v4
	v_add_f32_e32 v24, v2, v3
	v_sub_f32_e32 v2, v3, v2
	v_add_f32_e32 v3, v76, v81
	v_add_f32_e32 v26, v6, v11
	v_sub_f32_e32 v6, v6, v11
	v_add_f32_e32 v11, v77, v80
	v_sub_f32_e32 v23, v71, v74
	;; [unrolled: 2-line block ×3, first 2 shown]
	v_add_f32_e32 v28, v7, v10
	v_add_f32_e32 v32, v8, v9
	v_sub_f32_e32 v8, v9, v8
	v_add_f32_e32 v9, v5, v16
	v_sub_f32_e32 v18, v29, v75
	v_sub_f32_e32 v7, v7, v10
	v_add_f32_e32 v10, v78, v79
	v_add_f32_e32 v34, v19, v17
	v_sub_f32_e32 v36, v19, v17
	v_sub_f32_e32 v17, v17, v24
	;; [unrolled: 1-line block ×3, first 2 shown]
	v_add_f32_e32 v38, v2, v1
	v_sub_f32_e32 v42, v2, v1
	v_sub_f32_e32 v1, v1, v0
	v_add_f32_e32 v43, v11, v3
	v_sub_f32_e32 v35, v5, v16
	v_sub_f32_e32 v16, v16, v4
	;; [unrolled: 1-line block ×3, first 2 shown]
	v_add_f32_e32 v37, v25, v23
	v_sub_f32_e32 v39, v25, v23
	v_add_f32_e32 v44, v28, v26
	v_add_f32_e32 v4, v4, v9
	v_sub_f32_e32 v23, v23, v18
	v_sub_f32_e32 v2, v0, v2
	;; [unrolled: 1-line block ×5, first 2 shown]
	v_add_f32_e32 v48, v8, v7
	v_sub_f32_e32 v50, v8, v7
	v_sub_f32_e32 v7, v7, v6
	v_add_f32_e32 v9, v24, v34
	v_add_f32_e32 v0, v38, v0
	v_mul_f32_e32 v17, 0x3f4a47b2, v17
	v_mul_f32_e32 v34, 0x3d64c772, v19
	;; [unrolled: 1-line block ×4, first 2 shown]
	v_add_f32_e32 v10, v10, v43
	v_sub_f32_e32 v27, v76, v81
	v_sub_f32_e32 v29, v77, v80
	;; [unrolled: 1-line block ×7, first 2 shown]
	v_add_f32_e32 v18, v37, v18
	v_mul_f32_e32 v16, 0x3f4a47b2, v16
	v_mul_f32_e32 v24, 0x3d64c772, v5
	;; [unrolled: 1-line block ×3, first 2 shown]
	v_add_f32_e32 v32, v32, v44
	v_add_f32_e32 v20, v20, v4
	v_mul_f32_e32 v39, 0xbf5ff5aa, v23
	v_sub_f32_e32 v8, v6, v8
	v_add_f32_e32 v6, v48, v6
	v_mul_f32_e32 v3, 0x3f4a47b2, v3
	v_mul_f32_e32 v43, 0x3d64c772, v11
	;; [unrolled: 1-line block ×4, first 2 shown]
	v_add_f32_e32 v51, v67, v9
	v_fmamk_f32 v19, v19, 0x3d64c772, v17
	v_fma_f32 v34, 0x3f3bfb3b, v36, -v34
	v_fma_f32 v17, 0xbf3bfb3b, v36, -v17
	v_fmamk_f32 v36, v2, 0xbeae86e6, v38
	v_fma_f32 v1, 0xbf5ff5aa, v1, -v38
	v_fma_f32 v2, 0x3eae86e6, v2, -v42
	v_add_f32_e32 v21, v21, v10
	v_add_f32_e32 v47, v33, v29
	v_sub_f32_e32 v49, v33, v29
	v_sub_f32_e32 v29, v29, v27
	v_mul_f32_e32 v26, 0x3f4a47b2, v26
	v_mul_f32_e32 v44, 0x3d64c772, v28
	v_fmamk_f32 v5, v5, 0x3d64c772, v16
	v_fma_f32 v24, 0x3f3bfb3b, v35, -v24
	v_fma_f32 v16, 0xbf3bfb3b, v35, -v16
	v_fmamk_f32 v35, v25, 0xbeae86e6, v37
	v_fma_f32 v23, 0xbf5ff5aa, v23, -v37
	v_add_f32_e32 v37, v68, v32
	v_fmamk_f32 v4, v4, 0xbf955555, v20
	v_fma_f32 v25, 0x3eae86e6, v25, -v39
	v_fmamk_f32 v11, v11, 0x3d64c772, v3
	v_fma_f32 v38, 0x3f3bfb3b, v45, -v43
	v_fma_f32 v3, 0xbf3bfb3b, v45, -v3
	v_fmamk_f32 v43, v8, 0xbeae86e6, v48
	v_fma_f32 v7, 0xbf5ff5aa, v7, -v48
	v_fma_f32 v8, 0x3eae86e6, v8, -v50
	v_fmamk_f32 v9, v9, 0xbf955555, v51
	v_fmac_f32_e32 v36, 0xbee1c552, v0
	v_fmac_f32_e32 v1, 0xbee1c552, v0
	;; [unrolled: 1-line block ×3, first 2 shown]
	v_fmamk_f32 v0, v10, 0xbf955555, v21
	v_sub_f32_e32 v33, v27, v33
	v_add_f32_e32 v27, v47, v27
	v_mul_f32_e32 v47, 0x3f08b237, v49
	v_mul_f32_e32 v49, 0xbf5ff5aa, v29
	v_fmamk_f32 v28, v28, 0x3d64c772, v26
	v_fma_f32 v39, 0x3f3bfb3b, v46, -v44
	v_fma_f32 v26, 0xbf3bfb3b, v46, -v26
	v_fmamk_f32 v10, v32, 0xbf955555, v37
	v_add_f32_e32 v5, v5, v4
	v_fmac_f32_e32 v35, 0xbee1c552, v18
	v_fmac_f32_e32 v23, 0xbee1c552, v18
	;; [unrolled: 1-line block ×3, first 2 shown]
	v_add_f32_e32 v18, v24, v4
	v_add_f32_e32 v4, v16, v4
	v_fmac_f32_e32 v43, 0xbee1c552, v6
	v_fmac_f32_e32 v7, 0xbee1c552, v6
	;; [unrolled: 1-line block ×3, first 2 shown]
	v_add_f32_e32 v6, v19, v9
	v_add_f32_e32 v19, v34, v9
	;; [unrolled: 1-line block ×6, first 2 shown]
	v_fmamk_f32 v42, v33, 0xbeae86e6, v47
	v_fma_f32 v44, 0xbf5ff5aa, v29, -v47
	v_fma_f32 v33, 0x3eae86e6, v33, -v49
	v_add_f32_e32 v32, v28, v10
	v_add_f32_e32 v34, v39, v10
	;; [unrolled: 1-line block ×5, first 2 shown]
	v_sub_f32_e32 v24, v18, v1
	v_add_f32_e32 v1, v1, v18
	v_sub_f32_e32 v2, v4, v2
	v_sub_f32_e32 v5, v5, v36
	;; [unrolled: 1-line block ×3, first 2 shown]
	v_add_f32_e32 v45, v23, v19
	v_sub_f32_e32 v46, v19, v23
	v_add_f32_e32 v4, v25, v9
	v_add_f32_e32 v9, v43, v11
	;; [unrolled: 1-line block ×3, first 2 shown]
	v_sub_f32_e32 v19, v16, v7
	v_fmac_f32_e32 v42, 0xbee1c552, v27
	v_fmac_f32_e32 v44, 0xbee1c552, v27
	;; [unrolled: 1-line block ×3, first 2 shown]
	v_add_f32_e32 v7, v7, v16
	v_sub_f32_e32 v0, v0, v8
	v_sub_f32_e32 v8, v11, v43
	ds_write2_b32 v70, v20, v10 offset1:34
	ds_write2_b32 v70, v17, v24 offset0:68 offset1:102
	ds_write2_b32 v70, v1, v2 offset0:136 offset1:170
	ds_write_b32 v70, v5 offset:816
	ds_write2_b32 v69, v21, v9 offset1:34
	ds_write2_b32 v69, v18, v19 offset0:68 offset1:102
	ds_write2_b32 v69, v7, v0 offset0:136 offset1:170
	ds_write_b32 v69, v8 offset:816
	s_waitcnt lgkmcnt(0)
	s_barrier
	buffer_gl0_inv
	ds_read2_b32 v[16:17], v53 offset1:119
	ds_read2_b32 v[24:25], v56 offset0:110 offset1:229
	ds_read2_b32 v[18:19], v58 offset0:92 offset1:211
	;; [unrolled: 1-line block ×6, first 2 shown]
	v_sub_f32_e32 v38, v6, v35
	v_add_f32_e32 v6, v35, v6
	v_sub_f32_e32 v35, v32, v42
	v_sub_f32_e32 v0, v3, v33
	v_add_f32_e32 v1, v44, v34
	v_sub_f32_e32 v2, v34, v44
	v_add_f32_e32 v3, v33, v3
	v_add_f32_e32 v5, v42, v32
	s_waitcnt lgkmcnt(0)
	s_barrier
	buffer_gl0_inv
	ds_write2_b32 v70, v51, v38 offset1:34
	ds_write2_b32 v70, v39, v45 offset0:68 offset1:102
	ds_write2_b32 v70, v46, v4 offset0:136 offset1:170
	ds_write_b32 v70, v6 offset:816
	ds_write2_b32 v69, v37, v35 offset1:34
	ds_write2_b32 v69, v0, v1 offset0:68 offset1:102
	ds_write2_b32 v69, v2, v3 offset0:136 offset1:170
	ds_write_b32 v69, v5 offset:816
	s_waitcnt lgkmcnt(0)
	s_barrier
	buffer_gl0_inv
	s_and_saveexec_b32 s4, vcc_lo
	s_cbranch_execz .LBB0_17
; %bb.16:
	v_mul_u32_u24_e32 v0, 6, v30
	v_mul_u32_u24_e32 v32, 6, v52
	v_add_nc_u32_e32 v57, 0x200, v53
	v_add_nc_u32_e32 v59, 0x1600, v53
	;; [unrolled: 1-line block ×3, first 2 shown]
	v_lshlrev_b32_e32 v8, 3, v0
	v_lshlrev_b32_e32 v42, 3, v32
	v_add_nc_u32_e32 v63, 0xa00, v53
	v_add_nc_u32_e32 v65, 0x600, v53
	v_add_nc_u32_e32 v67, 0x1200, v53
	s_clause 0x5
	global_load_dwordx4 v[0:3], v8, s[12:13] offset:1768
	global_load_dwordx4 v[4:7], v8, s[12:13] offset:1800
	;; [unrolled: 1-line block ×6, first 2 shown]
	v_add_nc_u32_e32 v78, 0x3b8, v52
	v_mul_lo_u32 v75, s1, v14
	v_mul_lo_u32 v76, s0, v15
	v_mad_u64_u32 v[46:47], null, s0, v14, 0
	ds_read2_b32 v[14:15], v53 offset1:119
	ds_read2_b32 v[57:58], v57 offset0:110 offset1:229
	ds_read2_b32 v[59:60], v59 offset0:20 offset1:139
	;; [unrolled: 1-line block ×6, first 2 shown]
	v_add_nc_u32_e32 v79, 0x4a6, v52
	v_mad_u64_u32 v[48:49], null, s2, v52, 0
	v_mad_u64_u32 v[50:51], null, s2, v31, 0
	v_add_nc_u32_e32 v80, 0x594, v52
	v_mul_hi_u32 v77, 0x44d72045, v30
	v_mad_u64_u32 v[69:70], null, s2, v78, 0
	v_mad_u64_u32 v[53:54], null, s2, v40, 0
	v_mad_u64_u32 v[55:56], null, s2, v41, 0
	v_mad_u64_u32 v[71:72], null, s2, v79, 0
	v_mad_u64_u32 v[73:74], null, s2, v80, 0
	v_add3_u32 v47, v47, v76, v75
	v_lshrrev_b32_e32 v81, 6, v77
	v_mad_u64_u32 v[75:76], null, s3, v52, v[49:50]
	v_mad_u64_u32 v[51:52], null, s3, v31, v[51:52]
	v_mov_b32_e32 v31, v70
	v_lshlrev_b64 v[46:47], 3, v[46:47]
	v_mad_u64_u32 v[76:77], null, s3, v40, v[54:55]
	s_waitcnt lgkmcnt(5)
	v_mad_u64_u32 v[40:41], null, s3, v41, v[56:57]
	v_mov_b32_e32 v41, v72
	v_mov_b32_e32 v49, v74
	v_mad_u32_u24 v83, 0x594, v81, v30
	v_lshlrev_b64 v[12:13], 3, v[12:13]
	v_mov_b32_e32 v54, v76
	v_mov_b32_e32 v56, v40
	v_add_nc_u32_e32 v86, 0x2ca, v83
	v_add_nc_u32_e32 v84, 0xee, v83
	;; [unrolled: 1-line block ×5, first 2 shown]
	v_mad_u64_u32 v[81:82], null, s2, v87, 0
	s_waitcnt vmcnt(2)
	v_mad_u64_u32 v[30:31], null, s3, v78, v[31:32]
	s_waitcnt vmcnt(0)
	v_mad_u64_u32 v[77:78], null, s3, v79, v[41:42]
	v_add_co_u32 v31, vcc_lo, s10, v46
	v_mad_u64_u32 v[78:79], null, s3, v80, v[49:50]
	v_mad_u64_u32 v[79:80], null, s2, v83, 0
	v_add_co_ci_u32_e32 v52, vcc_lo, s11, v47, vcc_lo
	v_mov_b32_e32 v49, v75
	v_mov_b32_e32 v70, v30
	v_add_co_u32 v89, vcc_lo, v31, v12
	v_add_co_ci_u32_e32 v90, vcc_lo, v52, v13, vcc_lo
	v_lshlrev_b64 v[12:13], 3, v[48:49]
	v_lshlrev_b64 v[48:49], 3, v[50:51]
	v_lshlrev_b64 v[50:51], 3, v[53:54]
	v_lshlrev_b64 v[53:54], 3, v[69:70]
	v_mov_b32_e32 v72, v77
	v_mov_b32_e32 v52, v80
	v_mad_u64_u32 v[75:76], null, s2, v86, 0
	v_add_co_u32 v12, vcc_lo, v89, v12
	v_lshlrev_b64 v[30:31], 3, v[55:56]
	v_lshlrev_b64 v[55:56], 3, v[71:72]
	v_mad_u64_u32 v[71:72], null, s3, v83, v[52:53]
	v_add_co_ci_u32_e32 v13, vcc_lo, v90, v13, vcc_lo
	v_add_co_u32 v48, vcc_lo, v89, v48
	v_add_co_ci_u32_e32 v49, vcc_lo, v90, v49, vcc_lo
	v_add_co_u32 v50, vcc_lo, v89, v50
	v_mov_b32_e32 v74, v78
	v_mov_b32_e32 v52, v76
	v_add_co_ci_u32_e32 v51, vcc_lo, v90, v51, vcc_lo
	v_add_co_u32 v30, vcc_lo, v89, v30
	v_mov_b32_e32 v80, v71
	v_mad_u64_u32 v[40:41], null, s2, v84, 0
	v_add_co_ci_u32_e32 v31, vcc_lo, v90, v31, vcc_lo
	v_mad_u64_u32 v[46:47], null, s2, v85, 0
	v_lshlrev_b64 v[69:70], 3, v[73:74]
	v_mad_u64_u32 v[76:77], null, s3, v86, v[52:53]
	v_add_co_u32 v52, vcc_lo, v89, v53
	v_add_co_ci_u32_e32 v53, vcc_lo, v90, v54, vcc_lo
	v_add_co_u32 v54, vcc_lo, v89, v55
	v_lshlrev_b64 v[77:78], 3, v[79:80]
	v_add_co_ci_u32_e32 v55, vcc_lo, v90, v56, vcc_lo
	v_add_co_u32 v69, vcc_lo, v89, v69
	v_mad_u64_u32 v[72:73], null, s3, v84, v[41:42]
	v_mad_u64_u32 v[73:74], null, s3, v85, v[47:48]
	v_add_co_ci_u32_e32 v70, vcc_lo, v90, v70, vcc_lo
	v_add_co_u32 v71, vcc_lo, v89, v77
	v_mul_f32_e32 v74, v21, v10
	v_mul_f32_e32 v77, v27, v8
	;; [unrolled: 1-line block ×5, first 2 shown]
	s_waitcnt lgkmcnt(3)
	v_fmac_f32_e32 v74, v62, v11
	s_waitcnt lgkmcnt(2)
	v_fmac_f32_e32 v77, v64, v9
	v_fma_f32 v9, v62, v10, -v21
	v_mul_f32_e32 v10, v23, v4
	v_mul_f32_e32 v11, v29, v7
	;; [unrolled: 1-line block ×3, first 2 shown]
	v_mov_b32_e32 v41, v72
	v_add_co_ci_u32_e32 v72, vcc_lo, v90, v78, vcc_lo
	v_mul_f32_e32 v47, v25, v0
	v_mul_f32_e32 v78, v19, v2
	v_fma_f32 v8, v64, v8, -v27
	v_mul_f32_e32 v23, v25, v1
	v_fmac_f32_e32 v56, v60, v7
	s_waitcnt lgkmcnt(0)
	v_fmac_f32_e32 v10, v68, v5
	v_fma_f32 v5, v60, v6, -v11
	v_fma_f32 v4, v68, v4, -v21
	v_mul_f32_e32 v6, v19, v3
	v_mul_f32_e32 v7, v24, v32
	;; [unrolled: 1-line block ×13, first 2 shown]
	v_fmac_f32_e32 v47, v58, v1
	v_fmac_f32_e32 v78, v66, v3
	v_fma_f32 v0, v58, v0, -v23
	v_fma_f32 v1, v66, v2, -v6
	v_fmac_f32_e32 v7, v57, v33
	v_fmac_f32_e32 v11, v59, v39
	;; [unrolled: 1-line block ×6, first 2 shown]
	v_fma_f32 v2, v59, v38, -v21
	v_fma_f32 v3, v57, v32, -v24
	;; [unrolled: 1-line block ×6, first 2 shown]
	v_sub_f32_e32 v22, v47, v56
	v_sub_f32_e32 v23, v74, v77
	;; [unrolled: 1-line block ×3, first 2 shown]
	v_add_f32_e32 v26, v0, v5
	v_add_f32_e32 v29, v9, v8
	;; [unrolled: 1-line block ×6, first 2 shown]
	v_sub_f32_e32 v0, v0, v5
	v_sub_f32_e32 v5, v9, v8
	;; [unrolled: 1-line block ×5, first 2 shown]
	v_add_f32_e32 v35, v3, v2
	v_add_f32_e32 v37, v18, v21
	;; [unrolled: 1-line block ×5, first 2 shown]
	v_sub_f32_e32 v9, v27, v28
	v_add_f32_e32 v36, v20, v6
	v_sub_f32_e32 v2, v3, v2
	v_sub_f32_e32 v3, v20, v6
	;; [unrolled: 1-line block ×5, first 2 shown]
	v_add_f32_e32 v21, v23, v24
	v_sub_f32_e32 v23, v26, v29
	v_sub_f32_e32 v25, v29, v32
	v_add_f32_e32 v27, v26, v32
	v_sub_f32_e32 v38, v34, v10
	v_add_f32_e32 v39, v33, v10
	v_sub_f32_e32 v43, v5, v1
	v_sub_f32_e32 v26, v32, v26
	;; [unrolled: 1-line block ×3, first 2 shown]
	v_add_f32_e32 v47, v35, v37
	v_add_f32_e32 v58, v7, v19
	v_sub_f32_e32 v28, v33, v34
	v_sub_f32_e32 v42, v0, v5
	v_add_f32_e32 v5, v5, v1
	v_sub_f32_e32 v24, v24, v22
	v_sub_f32_e32 v10, v10, v33
	;; [unrolled: 1-line block ×4, first 2 shown]
	v_add_f32_e32 v8, v8, v9
	v_sub_f32_e32 v44, v35, v36
	v_sub_f32_e32 v45, v36, v37
	;; [unrolled: 1-line block ×6, first 2 shown]
	v_add_f32_e32 v3, v3, v6
	v_sub_f32_e32 v9, v9, v4
	v_sub_f32_e32 v35, v37, v35
	;; [unrolled: 1-line block ×3, first 2 shown]
	v_mul_f32_e32 v19, 0x3f08b237, v20
	v_add_f32_e32 v20, v22, v21
	v_mul_f32_e32 v22, 0x3d64c772, v25
	v_add_f32_e32 v25, v29, v27
	;; [unrolled: 2-line block ×3, first 2 shown]
	v_mul_f32_e32 v37, 0x3f08b237, v43
	v_mul_f32_e32 v39, 0xbf5ff5aa, v32
	v_add_f32_e32 v36, v36, v47
	v_add_f32_e32 v11, v11, v58
	v_sub_f32_e32 v6, v6, v2
	v_mul_f32_e32 v21, 0x3f4a47b2, v23
	v_mul_f32_e32 v27, 0x3f4a47b2, v28
	v_add_f32_e32 v5, v0, v5
	v_mul_f32_e32 v38, 0xbf5ff5aa, v24
	v_mul_f32_e32 v43, 0x3f08b237, v1
	v_add_f32_e32 v4, v4, v8
	v_mul_f32_e32 v8, 0x3f4a47b2, v44
	v_mul_f32_e32 v45, 0x3d64c772, v45
	v_mul_f32_e32 v47, 0x3f4a47b2, v56
	v_mul_f32_e32 v57, 0x3d64c772, v57
	v_mul_f32_e32 v58, 0x3f08b237, v60
	v_add_f32_e32 v60, v2, v3
	v_mul_f32_e32 v61, 0xbf5ff5aa, v9
	v_fmamk_f32 v63, v18, 0xbeae86e6, v19
	v_add_f32_e32 v1, v15, v25
	v_fmamk_f32 v15, v28, 0x3f4a47b2, v29
	v_add_f32_e32 v0, v17, v34
	v_fmamk_f32 v17, v42, 0xbeae86e6, v37
	v_fma_f32 v28, 0x3eae86e6, v42, -v39
	v_fma_f32 v19, 0xbf5ff5aa, v24, -v19
	;; [unrolled: 1-line block ×3, first 2 shown]
	v_add_f32_e32 v3, v14, v36
	v_add_f32_e32 v2, v16, v11
	v_mul_f32_e32 v62, 0xbf5ff5aa, v6
	v_fmamk_f32 v23, v23, 0x3f4a47b2, v22
	v_fma_f32 v18, 0x3eae86e6, v18, -v38
	v_fma_f32 v21, 0xbf3bfb3b, v26, -v21
	;; [unrolled: 1-line block ×5, first 2 shown]
	v_fmamk_f32 v26, v33, 0xbeae86e6, v43
	v_fmamk_f32 v29, v44, 0x3f4a47b2, v45
	;; [unrolled: 1-line block ×4, first 2 shown]
	v_fma_f32 v32, 0x3eae86e6, v33, -v61
	v_fma_f32 v8, 0xbf3bfb3b, v35, -v8
	;; [unrolled: 1-line block ×7, first 2 shown]
	v_fmamk_f32 v7, v25, 0xbf955555, v1
	v_fmamk_f32 v9, v34, 0xbf955555, v0
	v_fmac_f32_e32 v17, 0xbee1c552, v5
	v_fmac_f32_e32 v28, 0xbee1c552, v5
	;; [unrolled: 1-line block ×3, first 2 shown]
	v_fmamk_f32 v5, v36, 0xbf955555, v3
	v_fmamk_f32 v11, v11, 0xbf955555, v2
	v_fma_f32 v37, 0x3eae86e6, v59, -v62
	v_fmac_f32_e32 v63, 0xbee1c552, v20
	v_fmac_f32_e32 v18, 0xbee1c552, v20
	;; [unrolled: 1-line block ×6, first 2 shown]
	global_store_dwordx2 v[12:13], v[2:3], off
	v_add_f32_e32 v13, v21, v7
	v_add_f32_e32 v20, v27, v9
	;; [unrolled: 1-line block ×7, first 2 shown]
	v_fmac_f32_e32 v32, 0xbee1c552, v4
	v_fmac_f32_e32 v37, 0xbee1c552, v60
	v_add_f32_e32 v12, v23, v7
	v_add_f32_e32 v15, v15, v9
	;; [unrolled: 1-line block ×4, first 2 shown]
	v_fmac_f32_e32 v39, 0xbee1c552, v60
	v_add_f32_e32 v33, v6, v11
	v_sub_f32_e32 v7, v21, v19
	v_add_f32_e32 v6, v24, v10
	v_add_f32_e32 v9, v19, v21
	v_sub_f32_e32 v8, v10, v24
	v_sub_f32_e32 v19, v25, v38
	v_add_f32_e32 v21, v38, v25
	v_sub_f32_e32 v25, v22, v26
	v_add_f32_e32 v24, v16, v27
	v_add_f32_e32 v3, v63, v12
	v_sub_f32_e32 v2, v15, v17
	v_add_f32_e32 v5, v18, v13
	v_sub_f32_e32 v11, v13, v18
	v_sub_f32_e32 v13, v12, v63
	v_add_f32_e32 v12, v17, v15
	v_add_f32_e32 v15, v26, v22
	v_add_f32_e32 v17, v32, v23
	v_sub_f32_e32 v23, v23, v32
	v_add_f32_e32 v22, v37, v29
	v_sub_f32_e32 v4, v20, v28
	v_add_f32_e32 v10, v28, v20
	;; [unrolled: 2-line block ×3, first 2 shown]
	v_sub_f32_e32 v14, v27, v16
	v_sub_f32_e32 v16, v29, v37
	global_store_dwordx2 v[48:49], v[24:25], off
	global_store_dwordx2 v[50:51], v[22:23], off
	;; [unrolled: 1-line block ×7, first 2 shown]
	v_mov_b32_e32 v0, v82
	v_mad_u64_u32 v[14:15], null, s2, v88, 0
	v_add_nc_u32_e32 v19, 0x594, v83
	v_lshlrev_b64 v[40:41], 3, v[40:41]
	v_mad_u64_u32 v[0:1], null, s3, v87, v[0:1]
	v_mov_b32_e32 v47, v73
	v_mad_u64_u32 v[16:17], null, s2, v19, 0
	v_mov_b32_e32 v1, v15
	v_add_co_u32 v40, vcc_lo, v89, v40
	v_add_co_ci_u32_e32 v41, vcc_lo, v90, v41, vcc_lo
	v_mov_b32_e32 v82, v0
	v_mad_u64_u32 v[0:1], null, s3, v88, v[1:2]
	v_mov_b32_e32 v1, v17
	global_store_dwordx2 v[40:41], v[12:13], off
	v_lshlrev_b64 v[12:13], 3, v[46:47]
	v_lshlrev_b64 v[17:18], 3, v[75:76]
	v_mad_u64_u32 v[19:20], null, s3, v19, v[1:2]
	v_mov_b32_e32 v15, v0
	v_add_co_u32 v12, vcc_lo, v89, v12
	v_add_co_ci_u32_e32 v13, vcc_lo, v90, v13, vcc_lo
	v_lshlrev_b64 v[20:21], 3, v[81:82]
	v_add_co_u32 v0, vcc_lo, v89, v17
	v_mov_b32_e32 v17, v19
	v_lshlrev_b64 v[14:15], 3, v[14:15]
	v_add_co_ci_u32_e32 v1, vcc_lo, v90, v18, vcc_lo
	v_add_co_u32 v18, vcc_lo, v89, v20
	v_lshlrev_b64 v[16:17], 3, v[16:17]
	v_add_co_ci_u32_e32 v19, vcc_lo, v90, v21, vcc_lo
	v_add_co_u32 v14, vcc_lo, v89, v14
	v_add_co_ci_u32_e32 v15, vcc_lo, v90, v15, vcc_lo
	v_add_co_u32 v16, vcc_lo, v89, v16
	v_add_co_ci_u32_e32 v17, vcc_lo, v90, v17, vcc_lo
	global_store_dwordx2 v[12:13], v[10:11], off
	global_store_dwordx2 v[0:1], v[8:9], off
	;; [unrolled: 1-line block ×5, first 2 shown]
.LBB0_17:
	s_endpgm
	.section	.rodata,"a",@progbits
	.p2align	6, 0x0
	.amdhsa_kernel fft_rtc_back_len1666_factors_17_2_7_7_wgs_119_tpt_119_halfLds_sp_op_CI_CI_sbrr_dirReg
		.amdhsa_group_segment_fixed_size 0
		.amdhsa_private_segment_fixed_size 0
		.amdhsa_kernarg_size 104
		.amdhsa_user_sgpr_count 6
		.amdhsa_user_sgpr_private_segment_buffer 1
		.amdhsa_user_sgpr_dispatch_ptr 0
		.amdhsa_user_sgpr_queue_ptr 0
		.amdhsa_user_sgpr_kernarg_segment_ptr 1
		.amdhsa_user_sgpr_dispatch_id 0
		.amdhsa_user_sgpr_flat_scratch_init 0
		.amdhsa_user_sgpr_private_segment_size 0
		.amdhsa_wavefront_size32 1
		.amdhsa_uses_dynamic_stack 0
		.amdhsa_system_sgpr_private_segment_wavefront_offset 0
		.amdhsa_system_sgpr_workgroup_id_x 1
		.amdhsa_system_sgpr_workgroup_id_y 0
		.amdhsa_system_sgpr_workgroup_id_z 0
		.amdhsa_system_sgpr_workgroup_info 0
		.amdhsa_system_vgpr_workitem_id 0
		.amdhsa_next_free_vgpr 91
		.amdhsa_next_free_sgpr 31
		.amdhsa_reserve_vcc 1
		.amdhsa_reserve_flat_scratch 0
		.amdhsa_float_round_mode_32 0
		.amdhsa_float_round_mode_16_64 0
		.amdhsa_float_denorm_mode_32 3
		.amdhsa_float_denorm_mode_16_64 3
		.amdhsa_dx10_clamp 1
		.amdhsa_ieee_mode 1
		.amdhsa_fp16_overflow 0
		.amdhsa_workgroup_processor_mode 1
		.amdhsa_memory_ordered 1
		.amdhsa_forward_progress 0
		.amdhsa_shared_vgpr_count 0
		.amdhsa_exception_fp_ieee_invalid_op 0
		.amdhsa_exception_fp_denorm_src 0
		.amdhsa_exception_fp_ieee_div_zero 0
		.amdhsa_exception_fp_ieee_overflow 0
		.amdhsa_exception_fp_ieee_underflow 0
		.amdhsa_exception_fp_ieee_inexact 0
		.amdhsa_exception_int_div_zero 0
	.end_amdhsa_kernel
	.text
.Lfunc_end0:
	.size	fft_rtc_back_len1666_factors_17_2_7_7_wgs_119_tpt_119_halfLds_sp_op_CI_CI_sbrr_dirReg, .Lfunc_end0-fft_rtc_back_len1666_factors_17_2_7_7_wgs_119_tpt_119_halfLds_sp_op_CI_CI_sbrr_dirReg
                                        ; -- End function
	.section	.AMDGPU.csdata,"",@progbits
; Kernel info:
; codeLenInByte = 12452
; NumSgprs: 33
; NumVgprs: 91
; ScratchSize: 0
; MemoryBound: 0
; FloatMode: 240
; IeeeMode: 1
; LDSByteSize: 0 bytes/workgroup (compile time only)
; SGPRBlocks: 4
; VGPRBlocks: 11
; NumSGPRsForWavesPerEU: 33
; NumVGPRsForWavesPerEU: 91
; Occupancy: 10
; WaveLimiterHint : 1
; COMPUTE_PGM_RSRC2:SCRATCH_EN: 0
; COMPUTE_PGM_RSRC2:USER_SGPR: 6
; COMPUTE_PGM_RSRC2:TRAP_HANDLER: 0
; COMPUTE_PGM_RSRC2:TGID_X_EN: 1
; COMPUTE_PGM_RSRC2:TGID_Y_EN: 0
; COMPUTE_PGM_RSRC2:TGID_Z_EN: 0
; COMPUTE_PGM_RSRC2:TIDIG_COMP_CNT: 0
	.text
	.p2alignl 6, 3214868480
	.fill 48, 4, 3214868480
	.type	__hip_cuid_90f0ef2e6dfdb537,@object ; @__hip_cuid_90f0ef2e6dfdb537
	.section	.bss,"aw",@nobits
	.globl	__hip_cuid_90f0ef2e6dfdb537
__hip_cuid_90f0ef2e6dfdb537:
	.byte	0                               ; 0x0
	.size	__hip_cuid_90f0ef2e6dfdb537, 1

	.ident	"AMD clang version 19.0.0git (https://github.com/RadeonOpenCompute/llvm-project roc-6.4.0 25133 c7fe45cf4b819c5991fe208aaa96edf142730f1d)"
	.section	".note.GNU-stack","",@progbits
	.addrsig
	.addrsig_sym __hip_cuid_90f0ef2e6dfdb537
	.amdgpu_metadata
---
amdhsa.kernels:
  - .args:
      - .actual_access:  read_only
        .address_space:  global
        .offset:         0
        .size:           8
        .value_kind:     global_buffer
      - .offset:         8
        .size:           8
        .value_kind:     by_value
      - .actual_access:  read_only
        .address_space:  global
        .offset:         16
        .size:           8
        .value_kind:     global_buffer
      - .actual_access:  read_only
        .address_space:  global
        .offset:         24
        .size:           8
        .value_kind:     global_buffer
      - .actual_access:  read_only
        .address_space:  global
        .offset:         32
        .size:           8
        .value_kind:     global_buffer
      - .offset:         40
        .size:           8
        .value_kind:     by_value
      - .actual_access:  read_only
        .address_space:  global
        .offset:         48
        .size:           8
        .value_kind:     global_buffer
      - .actual_access:  read_only
        .address_space:  global
        .offset:         56
        .size:           8
        .value_kind:     global_buffer
      - .offset:         64
        .size:           4
        .value_kind:     by_value
      - .actual_access:  read_only
        .address_space:  global
        .offset:         72
        .size:           8
        .value_kind:     global_buffer
      - .actual_access:  read_only
        .address_space:  global
        .offset:         80
        .size:           8
        .value_kind:     global_buffer
      - .actual_access:  read_only
        .address_space:  global
        .offset:         88
        .size:           8
        .value_kind:     global_buffer
      - .actual_access:  write_only
        .address_space:  global
        .offset:         96
        .size:           8
        .value_kind:     global_buffer
    .group_segment_fixed_size: 0
    .kernarg_segment_align: 8
    .kernarg_segment_size: 104
    .language:       OpenCL C
    .language_version:
      - 2
      - 0
    .max_flat_workgroup_size: 119
    .name:           fft_rtc_back_len1666_factors_17_2_7_7_wgs_119_tpt_119_halfLds_sp_op_CI_CI_sbrr_dirReg
    .private_segment_fixed_size: 0
    .sgpr_count:     33
    .sgpr_spill_count: 0
    .symbol:         fft_rtc_back_len1666_factors_17_2_7_7_wgs_119_tpt_119_halfLds_sp_op_CI_CI_sbrr_dirReg.kd
    .uniform_work_group_size: 1
    .uses_dynamic_stack: false
    .vgpr_count:     91
    .vgpr_spill_count: 0
    .wavefront_size: 32
    .workgroup_processor_mode: 1
amdhsa.target:   amdgcn-amd-amdhsa--gfx1030
amdhsa.version:
  - 1
  - 2
...

	.end_amdgpu_metadata
